;; amdgpu-corpus repo=ROCm/rocFFT kind=compiled arch=gfx906 opt=O3
	.text
	.amdgcn_target "amdgcn-amd-amdhsa--gfx906"
	.amdhsa_code_object_version 6
	.protected	fft_rtc_fwd_len3645_factors_5_3_3_3_3_3_3_wgs_243_tpt_243_halfLds_half_op_CI_CI_sbrr_dirReg ; -- Begin function fft_rtc_fwd_len3645_factors_5_3_3_3_3_3_3_wgs_243_tpt_243_halfLds_half_op_CI_CI_sbrr_dirReg
	.globl	fft_rtc_fwd_len3645_factors_5_3_3_3_3_3_3_wgs_243_tpt_243_halfLds_half_op_CI_CI_sbrr_dirReg
	.p2align	8
	.type	fft_rtc_fwd_len3645_factors_5_3_3_3_3_3_3_wgs_243_tpt_243_halfLds_half_op_CI_CI_sbrr_dirReg,@function
fft_rtc_fwd_len3645_factors_5_3_3_3_3_3_3_wgs_243_tpt_243_halfLds_half_op_CI_CI_sbrr_dirReg: ; @fft_rtc_fwd_len3645_factors_5_3_3_3_3_3_3_wgs_243_tpt_243_halfLds_half_op_CI_CI_sbrr_dirReg
; %bb.0:
	s_load_dwordx4 s[16:19], s[4:5], 0x18
	s_load_dwordx4 s[12:15], s[4:5], 0x0
	;; [unrolled: 1-line block ×3, first 2 shown]
	v_mul_u32_u24_e32 v1, 0x10e, v0
	v_mov_b32_e32 v7, 0
	s_waitcnt lgkmcnt(0)
	s_load_dwordx2 s[20:21], s[16:17], 0x0
	s_load_dwordx2 s[2:3], s[18:19], 0x0
	v_cmp_lt_u64_e64 s[0:1], s[14:15], 2
	v_mov_b32_e32 v5, 0
	v_add_u32_sdwa v9, s6, v1 dst_sel:DWORD dst_unused:UNUSED_PAD src0_sel:DWORD src1_sel:WORD_1
	v_mov_b32_e32 v10, v7
	s_and_b64 vcc, exec, s[0:1]
	v_mov_b32_e32 v6, 0
	s_cbranch_vccnz .LBB0_8
; %bb.1:
	s_load_dwordx2 s[0:1], s[4:5], 0x10
	s_add_u32 s6, s18, 8
	s_addc_u32 s7, s19, 0
	s_add_u32 s22, s16, 8
	s_addc_u32 s23, s17, 0
	v_mov_b32_e32 v5, 0
	s_waitcnt lgkmcnt(0)
	s_add_u32 s24, s0, 8
	v_mov_b32_e32 v6, 0
	v_mov_b32_e32 v1, v5
	s_addc_u32 s25, s1, 0
	s_mov_b64 s[26:27], 1
	v_mov_b32_e32 v2, v6
.LBB0_2:                                ; =>This Inner Loop Header: Depth=1
	s_load_dwordx2 s[28:29], s[24:25], 0x0
                                        ; implicit-def: $vgpr3_vgpr4
	s_waitcnt lgkmcnt(0)
	v_or_b32_e32 v8, s29, v10
	v_cmp_ne_u64_e32 vcc, 0, v[7:8]
	s_and_saveexec_b64 s[0:1], vcc
	s_xor_b64 s[30:31], exec, s[0:1]
	s_cbranch_execz .LBB0_4
; %bb.3:                                ;   in Loop: Header=BB0_2 Depth=1
	v_cvt_f32_u32_e32 v3, s28
	v_cvt_f32_u32_e32 v4, s29
	s_sub_u32 s0, 0, s28
	s_subb_u32 s1, 0, s29
	v_mac_f32_e32 v3, 0x4f800000, v4
	v_rcp_f32_e32 v3, v3
	v_mul_f32_e32 v3, 0x5f7ffffc, v3
	v_mul_f32_e32 v4, 0x2f800000, v3
	v_trunc_f32_e32 v4, v4
	v_mac_f32_e32 v3, 0xcf800000, v4
	v_cvt_u32_f32_e32 v4, v4
	v_cvt_u32_f32_e32 v3, v3
	v_mul_lo_u32 v8, s0, v4
	v_mul_hi_u32 v11, s0, v3
	v_mul_lo_u32 v13, s1, v3
	v_mul_lo_u32 v12, s0, v3
	v_add_u32_e32 v8, v11, v8
	v_add_u32_e32 v8, v8, v13
	v_mul_hi_u32 v11, v3, v12
	v_mul_lo_u32 v13, v3, v8
	v_mul_hi_u32 v15, v3, v8
	v_mul_hi_u32 v14, v4, v12
	v_mul_lo_u32 v12, v4, v12
	v_mul_hi_u32 v16, v4, v8
	v_add_co_u32_e32 v11, vcc, v11, v13
	v_addc_co_u32_e32 v13, vcc, 0, v15, vcc
	v_mul_lo_u32 v8, v4, v8
	v_add_co_u32_e32 v11, vcc, v11, v12
	v_addc_co_u32_e32 v11, vcc, v13, v14, vcc
	v_addc_co_u32_e32 v12, vcc, 0, v16, vcc
	v_add_co_u32_e32 v8, vcc, v11, v8
	v_addc_co_u32_e32 v11, vcc, 0, v12, vcc
	v_add_co_u32_e32 v3, vcc, v3, v8
	v_addc_co_u32_e32 v4, vcc, v4, v11, vcc
	v_mul_lo_u32 v8, s0, v4
	v_mul_hi_u32 v11, s0, v3
	v_mul_lo_u32 v12, s1, v3
	v_mul_lo_u32 v13, s0, v3
	v_add_u32_e32 v8, v11, v8
	v_add_u32_e32 v8, v8, v12
	v_mul_lo_u32 v14, v3, v8
	v_mul_hi_u32 v15, v3, v13
	v_mul_hi_u32 v16, v3, v8
	;; [unrolled: 1-line block ×3, first 2 shown]
	v_mul_lo_u32 v13, v4, v13
	v_mul_hi_u32 v11, v4, v8
	v_add_co_u32_e32 v14, vcc, v15, v14
	v_addc_co_u32_e32 v15, vcc, 0, v16, vcc
	v_mul_lo_u32 v8, v4, v8
	v_add_co_u32_e32 v13, vcc, v14, v13
	v_addc_co_u32_e32 v12, vcc, v15, v12, vcc
	v_addc_co_u32_e32 v11, vcc, 0, v11, vcc
	v_add_co_u32_e32 v8, vcc, v12, v8
	v_addc_co_u32_e32 v11, vcc, 0, v11, vcc
	v_add_co_u32_e32 v8, vcc, v3, v8
	v_addc_co_u32_e32 v11, vcc, v4, v11, vcc
	v_mad_u64_u32 v[3:4], s[0:1], v9, v11, 0
	v_mul_hi_u32 v12, v9, v8
	v_add_co_u32_e32 v13, vcc, v12, v3
	v_addc_co_u32_e32 v14, vcc, 0, v4, vcc
	v_mad_u64_u32 v[3:4], s[0:1], v10, v8, 0
	v_mad_u64_u32 v[11:12], s[0:1], v10, v11, 0
	v_add_co_u32_e32 v3, vcc, v13, v3
	v_addc_co_u32_e32 v3, vcc, v14, v4, vcc
	v_addc_co_u32_e32 v4, vcc, 0, v12, vcc
	v_add_co_u32_e32 v8, vcc, v3, v11
	v_addc_co_u32_e32 v11, vcc, 0, v4, vcc
	v_mul_lo_u32 v12, s29, v8
	v_mul_lo_u32 v13, s28, v11
	v_mad_u64_u32 v[3:4], s[0:1], s28, v8, 0
	v_add3_u32 v4, v4, v13, v12
	v_sub_u32_e32 v12, v10, v4
	v_mov_b32_e32 v13, s29
	v_sub_co_u32_e32 v3, vcc, v9, v3
	v_subb_co_u32_e64 v12, s[0:1], v12, v13, vcc
	v_subrev_co_u32_e64 v13, s[0:1], s28, v3
	v_subbrev_co_u32_e64 v12, s[0:1], 0, v12, s[0:1]
	v_cmp_le_u32_e64 s[0:1], s29, v12
	v_cndmask_b32_e64 v14, 0, -1, s[0:1]
	v_cmp_le_u32_e64 s[0:1], s28, v13
	v_cndmask_b32_e64 v13, 0, -1, s[0:1]
	v_cmp_eq_u32_e64 s[0:1], s29, v12
	v_cndmask_b32_e64 v12, v14, v13, s[0:1]
	v_add_co_u32_e64 v13, s[0:1], 2, v8
	v_addc_co_u32_e64 v14, s[0:1], 0, v11, s[0:1]
	v_add_co_u32_e64 v15, s[0:1], 1, v8
	v_addc_co_u32_e64 v16, s[0:1], 0, v11, s[0:1]
	v_subb_co_u32_e32 v4, vcc, v10, v4, vcc
	v_cmp_ne_u32_e64 s[0:1], 0, v12
	v_cmp_le_u32_e32 vcc, s29, v4
	v_cndmask_b32_e64 v12, v16, v14, s[0:1]
	v_cndmask_b32_e64 v14, 0, -1, vcc
	v_cmp_le_u32_e32 vcc, s28, v3
	v_cndmask_b32_e64 v3, 0, -1, vcc
	v_cmp_eq_u32_e32 vcc, s29, v4
	v_cndmask_b32_e32 v3, v14, v3, vcc
	v_cmp_ne_u32_e32 vcc, 0, v3
	v_cndmask_b32_e64 v3, v15, v13, s[0:1]
	v_cndmask_b32_e32 v4, v11, v12, vcc
	v_cndmask_b32_e32 v3, v8, v3, vcc
.LBB0_4:                                ;   in Loop: Header=BB0_2 Depth=1
	s_andn2_saveexec_b64 s[0:1], s[30:31]
	s_cbranch_execz .LBB0_6
; %bb.5:                                ;   in Loop: Header=BB0_2 Depth=1
	v_cvt_f32_u32_e32 v3, s28
	s_sub_i32 s30, 0, s28
	v_rcp_iflag_f32_e32 v3, v3
	v_mul_f32_e32 v3, 0x4f7ffffe, v3
	v_cvt_u32_f32_e32 v3, v3
	v_mul_lo_u32 v4, s30, v3
	v_mul_hi_u32 v4, v3, v4
	v_add_u32_e32 v3, v3, v4
	v_mul_hi_u32 v3, v9, v3
	v_mul_lo_u32 v4, v3, s28
	v_add_u32_e32 v8, 1, v3
	v_sub_u32_e32 v4, v9, v4
	v_subrev_u32_e32 v11, s28, v4
	v_cmp_le_u32_e32 vcc, s28, v4
	v_cndmask_b32_e32 v4, v4, v11, vcc
	v_cndmask_b32_e32 v3, v3, v8, vcc
	v_add_u32_e32 v8, 1, v3
	v_cmp_le_u32_e32 vcc, s28, v4
	v_cndmask_b32_e32 v3, v3, v8, vcc
	v_mov_b32_e32 v4, v7
.LBB0_6:                                ;   in Loop: Header=BB0_2 Depth=1
	s_or_b64 exec, exec, s[0:1]
	v_mul_lo_u32 v8, v4, s28
	v_mul_lo_u32 v13, v3, s29
	v_mad_u64_u32 v[11:12], s[0:1], v3, s28, 0
	s_load_dwordx2 s[0:1], s[22:23], 0x0
	s_load_dwordx2 s[28:29], s[6:7], 0x0
	v_add3_u32 v8, v12, v13, v8
	v_sub_co_u32_e32 v9, vcc, v9, v11
	v_subb_co_u32_e32 v8, vcc, v10, v8, vcc
	s_waitcnt lgkmcnt(0)
	v_mul_lo_u32 v10, s0, v8
	v_mul_lo_u32 v11, s1, v9
	v_mad_u64_u32 v[5:6], s[0:1], s0, v9, v[5:6]
	v_mul_lo_u32 v8, s28, v8
	v_mul_lo_u32 v12, s29, v9
	v_mad_u64_u32 v[1:2], s[0:1], s28, v9, v[1:2]
	s_add_u32 s26, s26, 1
	s_addc_u32 s27, s27, 0
	s_add_u32 s6, s6, 8
	v_add3_u32 v2, v12, v2, v8
	s_addc_u32 s7, s7, 0
	v_mov_b32_e32 v8, s14
	s_add_u32 s22, s22, 8
	v_mov_b32_e32 v9, s15
	s_addc_u32 s23, s23, 0
	v_cmp_ge_u64_e32 vcc, s[26:27], v[8:9]
	s_add_u32 s24, s24, 8
	v_add3_u32 v6, v11, v6, v10
	s_addc_u32 s25, s25, 0
	s_cbranch_vccnz .LBB0_9
; %bb.7:                                ;   in Loop: Header=BB0_2 Depth=1
	v_mov_b32_e32 v10, v4
	v_mov_b32_e32 v9, v3
	s_branch .LBB0_2
.LBB0_8:
	v_mov_b32_e32 v1, v5
	v_mov_b32_e32 v3, v9
	;; [unrolled: 1-line block ×4, first 2 shown]
.LBB0_9:
	s_load_dwordx2 s[0:1], s[4:5], 0x28
	s_lshl_b64 s[14:15], s[14:15], 3
	s_add_u32 s4, s18, s14
	s_addc_u32 s5, s19, s15
                                        ; implicit-def: $vgpr9
                                        ; implicit-def: $vgpr10
                                        ; implicit-def: $vgpr13
                                        ; implicit-def: $vgpr11
                                        ; implicit-def: $vgpr12
	s_waitcnt lgkmcnt(0)
	v_cmp_gt_u64_e32 vcc, s[0:1], v[3:4]
	v_cmp_le_u64_e64 s[0:1], s[0:1], v[3:4]
	s_and_saveexec_b64 s[6:7], s[0:1]
	s_xor_b64 s[0:1], exec, s[6:7]
; %bb.10:
	s_mov_b32 s6, 0x10db20b
	v_mul_hi_u32 v5, v0, s6
	v_mul_u32_u24_e32 v5, 0xf3, v5
	v_sub_u32_e32 v9, v0, v5
	v_add_u32_e32 v10, 0xf3, v9
	v_add_u32_e32 v13, 0x1e6, v9
	;; [unrolled: 1-line block ×4, first 2 shown]
                                        ; implicit-def: $vgpr0
                                        ; implicit-def: $vgpr5_vgpr6
; %bb.11:
	s_or_saveexec_b64 s[6:7], s[0:1]
                                        ; implicit-def: $vgpr23
                                        ; implicit-def: $vgpr17
                                        ; implicit-def: $vgpr30
                                        ; implicit-def: $vgpr15
                                        ; implicit-def: $vgpr31
                                        ; implicit-def: $vgpr16
                                        ; implicit-def: $vgpr32
                                        ; implicit-def: $vgpr18
                                        ; implicit-def: $vgpr29
                                        ; implicit-def: $vgpr26
                                        ; implicit-def: $vgpr28
                                        ; implicit-def: $vgpr27
                                        ; implicit-def: $vgpr33
                                        ; implicit-def: $vgpr25
                                        ; implicit-def: $vgpr36
                                        ; implicit-def: $vgpr8
                                        ; implicit-def: $vgpr40
                                        ; implicit-def: $vgpr14
                                        ; implicit-def: $vgpr41
                                        ; implicit-def: $vgpr7
                                        ; implicit-def: $vgpr38
                                        ; implicit-def: $vgpr20
                                        ; implicit-def: $vgpr39
                                        ; implicit-def: $vgpr19
                                        ; implicit-def: $vgpr42
                                        ; implicit-def: $vgpr21
                                        ; implicit-def: $vgpr43
                                        ; implicit-def: $vgpr22
                                        ; implicit-def: $vgpr37
                                        ; implicit-def: $vgpr24
	s_xor_b64 exec, exec, s[6:7]
	s_cbranch_execz .LBB0_13
; %bb.12:
	s_add_u32 s0, s16, s14
	s_mov_b32 s14, 0x10db20b
	s_addc_u32 s1, s17, s15
	v_mul_hi_u32 v7, v0, s14
	s_load_dwordx2 s[0:1], s[0:1], 0x0
	v_lshlrev_b64 v[5:6], 2, v[5:6]
	v_mul_u32_u24_e32 v7, 0xf3, v7
	v_sub_u32_e32 v9, v0, v7
	s_waitcnt lgkmcnt(0)
	v_mul_lo_u32 v14, s1, v3
	v_mad_u64_u32 v[7:8], s[14:15], s20, v9, 0
	v_mul_lo_u32 v15, s0, v4
	v_mad_u64_u32 v[10:11], s[0:1], s0, v3, 0
	v_mov_b32_e32 v0, v8
	v_mad_u64_u32 v[12:13], s[0:1], s21, v9, v[0:1]
	v_add3_u32 v11, v11, v15, v14
	v_lshlrev_b64 v[10:11], 2, v[10:11]
	v_mov_b32_e32 v0, s9
	v_add_co_u32_e64 v10, s[0:1], s8, v10
	v_addc_co_u32_e64 v0, s[0:1], v0, v11, s[0:1]
	v_add_u32_e32 v11, 0x2d9, v9
	v_mov_b32_e32 v8, v12
	v_mad_u64_u32 v[12:13], s[0:1], s20, v11, 0
	v_add_co_u32_e64 v23, s[0:1], v10, v5
	v_addc_co_u32_e64 v40, s[0:1], v0, v6, s[0:1]
	v_mov_b32_e32 v0, v13
	v_add_u32_e32 v10, 0x5b2, v9
	v_lshlrev_b64 v[5:6], 2, v[7:8]
	v_mad_u64_u32 v[7:8], s[0:1], s21, v11, v[0:1]
	v_mad_u64_u32 v[14:15], s[0:1], s20, v10, 0
	v_add_co_u32_e64 v5, s[0:1], v23, v5
	v_mov_b32_e32 v13, v7
	v_mov_b32_e32 v0, v15
	v_addc_co_u32_e64 v6, s[0:1], v40, v6, s[0:1]
	v_lshlrev_b64 v[7:8], 2, v[12:13]
	v_mad_u64_u32 v[12:13], s[0:1], s21, v10, v[0:1]
	v_add_u32_e32 v10, 0x88b, v9
	v_mad_u64_u32 v[16:17], s[0:1], s20, v10, 0
	v_add_co_u32_e64 v25, s[0:1], v23, v7
	v_mov_b32_e32 v0, v17
	v_addc_co_u32_e64 v26, s[0:1], v40, v8, s[0:1]
	v_mov_b32_e32 v15, v12
	v_mad_u64_u32 v[12:13], s[0:1], s21, v10, v[0:1]
	v_add_u32_e32 v10, 0xb64, v9
	v_lshlrev_b64 v[7:8], 2, v[14:15]
	v_mad_u64_u32 v[13:14], s[0:1], s20, v10, 0
	v_add_co_u32_e64 v27, s[0:1], v23, v7
	v_mov_b32_e32 v0, v14
	v_addc_co_u32_e64 v28, s[0:1], v40, v8, s[0:1]
	v_mov_b32_e32 v17, v12
	v_mad_u64_u32 v[14:15], s[0:1], s21, v10, v[0:1]
	v_add_u32_e32 v10, 0xf3, v9
	v_lshlrev_b64 v[7:8], 2, v[16:17]
	v_mad_u64_u32 v[15:16], s[0:1], s20, v10, 0
	v_add_co_u32_e64 v17, s[0:1], v23, v7
	v_mov_b32_e32 v0, v16
	v_add_u32_e32 v12, 0x3cc, v9
	v_addc_co_u32_e64 v18, s[0:1], v40, v8, s[0:1]
	v_lshlrev_b64 v[7:8], 2, v[13:14]
	v_mad_u64_u32 v[13:14], s[0:1], s21, v10, v[0:1]
	v_mad_u64_u32 v[19:20], s[0:1], s20, v12, 0
	v_add_co_u32_e64 v29, s[0:1], v23, v7
	v_mov_b32_e32 v16, v13
	v_mov_b32_e32 v0, v20
	v_addc_co_u32_e64 v30, s[0:1], v40, v8, s[0:1]
	v_lshlrev_b64 v[7:8], 2, v[15:16]
	v_mad_u64_u32 v[13:14], s[0:1], s21, v12, v[0:1]
	v_add_u32_e32 v16, 0x6a5, v9
	v_mad_u64_u32 v[14:15], s[0:1], s20, v16, 0
	v_add_co_u32_e64 v31, s[0:1], v23, v7
	v_mov_b32_e32 v0, v15
	v_addc_co_u32_e64 v32, s[0:1], v40, v8, s[0:1]
	v_mov_b32_e32 v20, v13
	v_mad_u64_u32 v[15:16], s[0:1], s21, v16, v[0:1]
	v_lshlrev_b64 v[7:8], 2, v[19:20]
	v_add_u32_e32 v13, 0x97e, v9
	v_add_co_u32_e64 v33, s[0:1], v23, v7
	v_addc_co_u32_e64 v34, s[0:1], v40, v8, s[0:1]
	v_lshlrev_b64 v[7:8], 2, v[14:15]
	v_mad_u64_u32 v[15:16], s[0:1], s20, v13, 0
	v_add_co_u32_e64 v35, s[0:1], v23, v7
	v_mov_b32_e32 v0, v16
	v_add_u32_e32 v39, 0xc57, v9
	v_addc_co_u32_e64 v36, s[0:1], v40, v8, s[0:1]
	v_mad_u64_u32 v[13:14], s[0:1], s21, v13, v[0:1]
	v_mad_u64_u32 v[37:38], s[0:1], s20, v39, 0
	v_mov_b32_e32 v16, v13
	global_load_dword v24, v[5:6], off
	global_load_dword v22, v[25:26], off
	;; [unrolled: 1-line block ×8, first 2 shown]
	v_mov_b32_e32 v0, v38
	v_lshlrev_b64 v[5:6], 2, v[15:16]
	v_mad_u64_u32 v[15:16], s[0:1], s21, v39, v[0:1]
	v_add_u32_e32 v13, 0x1e6, v9
	v_mad_u64_u32 v[16:17], s[0:1], s20, v13, 0
	v_add_co_u32_e64 v5, s[0:1], v23, v5
	v_mov_b32_e32 v0, v17
	v_addc_co_u32_e64 v6, s[0:1], v40, v6, s[0:1]
	v_mad_u64_u32 v[17:18], s[0:1], s21, v13, v[0:1]
	v_add_u32_e32 v18, 0x4bf, v9
	v_mad_u64_u32 v[27:28], s[0:1], s20, v18, 0
	v_mov_b32_e32 v38, v15
	v_lshlrev_b64 v[25:26], 2, v[37:38]
	v_mov_b32_e32 v0, v28
	v_add_co_u32_e64 v29, s[0:1], v23, v25
	v_addc_co_u32_e64 v30, s[0:1], v40, v26, s[0:1]
	v_lshlrev_b64 v[15:16], 2, v[16:17]
	v_mad_u64_u32 v[17:18], s[0:1], s21, v18, v[0:1]
	v_add_u32_e32 v18, 0x798, v9
	v_mad_u64_u32 v[25:26], s[0:1], s20, v18, 0
	v_add_co_u32_e64 v31, s[0:1], v23, v15
	v_mov_b32_e32 v0, v26
	v_addc_co_u32_e64 v32, s[0:1], v40, v16, s[0:1]
	v_mov_b32_e32 v28, v17
	v_mad_u64_u32 v[17:18], s[0:1], s21, v18, v[0:1]
	v_add_u32_e32 v18, 0xa71, v9
	v_lshlrev_b64 v[15:16], 2, v[27:28]
	v_mad_u64_u32 v[27:28], s[0:1], s20, v18, 0
	v_add_co_u32_e64 v33, s[0:1], v23, v15
	v_mov_b32_e32 v0, v28
	v_addc_co_u32_e64 v34, s[0:1], v40, v16, s[0:1]
	v_mov_b32_e32 v26, v17
	v_mad_u64_u32 v[17:18], s[0:1], s21, v18, v[0:1]
	v_add_u32_e32 v18, 0xd4a, v9
	v_lshlrev_b64 v[15:16], 2, v[25:26]
	v_mad_u64_u32 v[25:26], s[0:1], s20, v18, 0
	v_add_co_u32_e64 v35, s[0:1], v23, v15
	v_mov_b32_e32 v0, v26
	v_addc_co_u32_e64 v36, s[0:1], v40, v16, s[0:1]
	v_mov_b32_e32 v28, v17
	v_mad_u64_u32 v[17:18], s[0:1], s21, v18, v[0:1]
	v_lshlrev_b64 v[15:16], 2, v[27:28]
	v_add_co_u32_e64 v37, s[0:1], v23, v15
	v_mov_b32_e32 v26, v17
	v_addc_co_u32_e64 v38, s[0:1], v40, v16, s[0:1]
	v_lshlrev_b64 v[15:16], 2, v[25:26]
	v_add_co_u32_e64 v39, s[0:1], v23, v15
	v_addc_co_u32_e64 v40, s[0:1], v40, v16, s[0:1]
	global_load_dword v25, v[5:6], off
	global_load_dword v27, v[29:30], off
	;; [unrolled: 1-line block ×7, first 2 shown]
	s_waitcnt vmcnt(14)
	v_lshrrev_b32_e32 v37, 16, v24
	s_waitcnt vmcnt(13)
	v_lshrrev_b32_e32 v43, 16, v22
	;; [unrolled: 2-line block ×15, first 2 shown]
.LBB0_13:
	s_or_b64 exec, exec, s[6:7]
	v_add_f16_e32 v5, v19, v21
	v_fma_f16 v5, v5, -0.5, v24
	v_sub_f16_e32 v6, v43, v38
	s_movk_i32 s1, 0x3b9c
	s_mov_b32 s7, 0xbb9c
	v_fma_f16 v34, v6, s1, v5
	v_sub_f16_e32 v35, v42, v39
	s_movk_i32 s0, 0x38b4
	v_sub_f16_e32 v44, v22, v21
	v_sub_f16_e32 v45, v20, v19
	v_fma_f16 v5, v6, s7, v5
	s_mov_b32 s8, 0xb8b4
	v_fma_f16 v34, v35, s0, v34
	v_add_f16_e32 v44, v45, v44
	s_movk_i32 s6, 0x34f2
	v_fma_f16 v5, v35, s8, v5
	v_fma_f16 v45, v44, s6, v34
	;; [unrolled: 1-line block ×3, first 2 shown]
	v_add_f16_e32 v5, v20, v22
	v_fma_f16 v5, v5, -0.5, v24
	v_add_f16_e32 v0, v22, v24
	v_fma_f16 v24, v35, s7, v5
	v_sub_f16_e32 v34, v21, v22
	v_sub_f16_e32 v46, v19, v20
	v_fma_f16 v5, v35, s1, v5
	v_add_f16_e32 v34, v46, v34
	v_fma_f16 v5, v6, s8, v5
	v_fma_f16 v47, v34, s6, v5
	v_add_f16_e32 v5, v43, v37
	v_add_f16_e32 v5, v42, v5
	;; [unrolled: 1-line block ×3, first 2 shown]
	v_fma_f16 v24, v6, s0, v24
	v_add_f16_e32 v5, v39, v5
	v_add_f16_e32 v0, v19, v0
	v_fma_f16 v46, v34, s6, v24
	v_add_f16_e32 v34, v38, v5
	v_add_f16_e32 v5, v39, v42
	;; [unrolled: 1-line block ×3, first 2 shown]
	v_fma_f16 v5, v5, -0.5, v37
	v_sub_f16_e32 v20, v22, v20
	v_fma_f16 v6, v20, s7, v5
	v_sub_f16_e32 v19, v21, v19
	v_sub_f16_e32 v21, v43, v42
	v_sub_f16_e32 v22, v38, v39
	v_fma_f16 v5, v20, s1, v5
	v_fma_f16 v6, v19, s8, v6
	v_add_f16_e32 v21, v22, v21
	v_fma_f16 v5, v19, s0, v5
	v_fma_f16 v35, v21, s6, v6
	;; [unrolled: 1-line block ×3, first 2 shown]
	v_add_f16_e32 v5, v38, v43
	v_fma_f16 v5, v5, -0.5, v37
	v_fma_f16 v21, v19, s1, v5
	v_fma_f16 v5, v19, s7, v5
	v_sub_f16_e32 v22, v39, v38
	v_fma_f16 v39, v20, s0, v5
	v_add_f16_e32 v5, v14, v7
	v_add_f16_e32 v5, v8, v5
	;; [unrolled: 1-line block ×3, first 2 shown]
	v_fma_f16 v37, v20, s8, v21
	v_sub_f16_e32 v21, v42, v43
	v_add_f16_e32 v19, v27, v5
	v_add_f16_e32 v5, v25, v8
	;; [unrolled: 1-line block ×3, first 2 shown]
	v_fma_f16 v5, v5, -0.5, v7
	v_sub_f16_e32 v20, v40, v28
	v_mul_f16_e32 v38, 0x34f2, v21
	v_fma_f16 v21, v20, s1, v5
	v_sub_f16_e32 v22, v36, v33
	v_sub_f16_e32 v24, v14, v8
	;; [unrolled: 1-line block ×3, first 2 shown]
	v_fma_f16 v5, v20, s7, v5
	v_add_f16_e32 v24, v42, v24
	v_fma_f16 v5, v22, s8, v5
	v_fma_f16 v42, v24, s6, v5
	v_add_f16_e32 v5, v27, v14
	v_fma_f16 v21, v22, s0, v21
	v_fma_f16 v5, v5, -0.5, v7
	v_fma_f16 v21, v24, s6, v21
	v_fma_f16 v7, v22, s7, v5
	v_sub_f16_e32 v24, v8, v14
	v_sub_f16_e32 v43, v25, v27
	v_fma_f16 v5, v22, s1, v5
	v_add_f16_e32 v24, v43, v24
	v_fma_f16 v5, v20, s8, v5
	v_fma_f16 v7, v20, s0, v7
	;; [unrolled: 1-line block ×3, first 2 shown]
	v_add_f16_e32 v5, v40, v41
	v_add_f16_e32 v5, v36, v5
	;; [unrolled: 1-line block ×3, first 2 shown]
	v_fma_f16 v43, v24, s6, v7
	v_add_f16_e32 v7, v28, v5
	v_add_f16_e32 v5, v33, v36
	v_fma_f16 v5, v5, -0.5, v41
	v_sub_f16_e32 v14, v14, v27
	v_fma_f16 v22, v14, s7, v5
	v_sub_f16_e32 v27, v8, v25
	v_fma_f16 v8, v27, s8, v22
	v_sub_f16_e32 v22, v40, v36
	v_sub_f16_e32 v24, v28, v33
	v_fma_f16 v5, v14, s1, v5
	v_add_f16_e32 v22, v24, v22
	v_fma_f16 v5, v27, s0, v5
	v_fma_f16 v8, v22, s6, v8
	;; [unrolled: 1-line block ×3, first 2 shown]
	v_add_f16_e32 v22, v28, v40
	v_fma_f16 v22, v22, -0.5, v41
	v_fma_f16 v24, v27, s1, v22
	v_fma_f16 v25, v14, s8, v24
	v_sub_f16_e32 v24, v36, v40
	v_sub_f16_e32 v28, v33, v28
	v_fma_f16 v22, v27, s7, v22
	v_add_f16_e32 v24, v28, v24
	v_fma_f16 v28, v14, s0, v22
	v_add_f16_e32 v14, v18, v26
	v_add_f16_e32 v14, v16, v14
	;; [unrolled: 1-line block ×5, first 2 shown]
	v_fma_f16 v14, v14, -0.5, v26
	v_sub_f16_e32 v22, v32, v23
	v_fma_f16 v27, v22, s1, v14
	v_sub_f16_e32 v36, v31, v30
	v_sub_f16_e32 v40, v18, v16
	;; [unrolled: 1-line block ×3, first 2 shown]
	v_fma_f16 v14, v22, s7, v14
	v_add_f16_e32 v40, v41, v40
	v_fma_f16 v14, v36, s8, v14
	v_fma_f16 v48, v40, s6, v14
	v_add_f16_e32 v14, v17, v18
	v_fma_f16 v27, v36, s0, v27
	v_fma_f16 v14, v14, -0.5, v26
	v_fma_f16 v41, v40, s6, v27
	v_fma_f16 v26, v36, s7, v14
	v_sub_f16_e32 v27, v16, v18
	v_sub_f16_e32 v40, v15, v17
	v_fma_f16 v14, v36, s1, v14
	v_add_f16_e32 v27, v40, v27
	v_fma_f16 v14, v22, s8, v14
	v_fma_f16 v36, v27, s6, v14
	v_add_f16_e32 v14, v32, v29
	v_add_f16_e32 v14, v31, v14
	;; [unrolled: 1-line block ×3, first 2 shown]
	v_fma_f16 v26, v22, s0, v26
	v_add_f16_e32 v22, v23, v14
	v_add_f16_e32 v14, v30, v31
	v_fma_f16 v14, v14, -0.5, v29
	v_sub_f16_e32 v17, v18, v17
	v_fma_f16 v18, v17, s7, v14
	v_sub_f16_e32 v15, v16, v15
	v_fma_f16 v49, v27, s6, v26
	v_fma_f16 v16, v15, s8, v18
	v_sub_f16_e32 v18, v32, v31
	v_sub_f16_e32 v26, v23, v30
	v_fma_f16 v14, v17, s1, v14
	v_add_f16_e32 v18, v26, v18
	v_fma_f16 v14, v15, s0, v14
	v_fma_f16 v26, v18, s6, v14
	v_add_f16_e32 v14, v23, v32
	v_fma_f16 v14, v14, -0.5, v29
	v_fma_f16 v27, v18, s6, v16
	v_fma_f16 v16, v15, s1, v14
	;; [unrolled: 1-line block ×4, first 2 shown]
	v_sub_f16_e32 v16, v31, v32
	v_sub_f16_e32 v18, v30, v23
	v_fma_f16 v32, v17, s0, v14
	v_mad_u32_u24 v40, v9, 10, 0
	v_pack_b32_f16 v15, v46, v47
	v_pack_b32_f16 v14, v0, v45
	s_load_dwordx2 s[4:5], s[4:5], 0x0
	v_add_f16_e32 v16, v18, v16
	ds_write_b64 v40, v[14:15]
	ds_write_b16 v40, v44 offset:8
	v_mad_i32_i24 v0, v10, 10, 0
	v_pack_b32_f16 v15, v43, v20
	v_pack_b32_f16 v14, v19, v21
	v_mul_f16_e32 v30, 0x34f2, v16
	ds_write_b64 v0, v[14:15]
	ds_write_b16 v0, v42 offset:8
	v_mad_i32_i24 v14, v13, 10, 0
	v_pack_b32_f16 v16, v49, v36
	v_pack_b32_f16 v15, v33, v41
	ds_write_b64 v14, v[15:16]
	ds_write_b16 v14, v48 offset:8
	v_lshlrev_b32_e32 v15, 3, v9
	v_lshlrev_b32_e32 v18, 3, v10
	;; [unrolled: 1-line block ×3, first 2 shown]
	v_pack_b32_f16 v37, v37, v39
	v_sub_u32_e32 v15, v40, v15
	v_sub_u32_e32 v21, v0, v18
	;; [unrolled: 1-line block ×3, first 2 shown]
	v_lshl_add_u32 v16, v11, 1, 0
	v_lshl_add_u32 v17, v12, 1, 0
	v_pk_add_f16 v38, v38, v37 op_sel_hi:[0,1]
	v_pack_b32_f16 v37, v34, v35
	v_mul_f16_e32 v24, 0x34f2, v24
	s_waitcnt lgkmcnt(0)
	s_barrier
	ds_read_u16 v41, v15
	ds_read_u16 v44, v15 offset:2430
	ds_read_u16 v45, v15 offset:4860
	ds_read_u16 v36, v21
	ds_read_u16 v46, v15 offset:2916
	ds_read_u16 v47, v15 offset:5346
	;; [unrolled: 3-line block ×5, first 2 shown]
	s_waitcnt lgkmcnt(0)
	s_barrier
	ds_write_b64 v40, v[37:38]
	ds_write_b16 v40, v6 offset:8
	v_pack_b32_f16 v6, v25, v28
	v_pk_add_f16 v25, v24, v6 op_sel_hi:[0,1]
	v_pack_b32_f16 v24, v7, v8
	ds_write_b64 v0, v[24:25]
	ds_write_b16 v0, v5 offset:8
	v_pack_b32_f16 v5, v29, v32
	v_pk_add_f16 v6, v30, v5 op_sel_hi:[0,1]
	v_pack_b32_f16 v5, v22, v27
	s_movk_i32 s0, 0xcd
	ds_write_b64 v14, v[5:6]
	ds_write_b16 v14, v26 offset:8
	v_mul_lo_u16_sdwa v5, v9, s0 dst_sel:DWORD dst_unused:UNUSED_PAD src0_sel:BYTE_0 src1_sel:DWORD
	v_lshrrev_b16_e32 v52, 10, v5
	v_mul_lo_u16_e32 v5, 5, v52
	v_sub_u16_e32 v7, v9, v5
	v_mov_b32_e32 v5, 1
	v_mov_b32_e32 v6, 3
	v_lshlrev_b32_sdwa v53, v5, v7 dst_sel:DWORD dst_unused:UNUSED_PAD src0_sel:DWORD src1_sel:BYTE_0
	v_lshlrev_b32_sdwa v7, v6, v7 dst_sel:DWORD dst_unused:UNUSED_PAD src0_sel:DWORD src1_sel:BYTE_0
	s_waitcnt lgkmcnt(0)
	s_barrier
	ds_read_u16 v22, v15
	ds_read_u16 v24, v15 offset:2430
	ds_read_u16 v25, v15 offset:4860
	ds_read_u16 v26, v21
	ds_read_u16 v27, v15 offset:2916
	ds_read_u16 v28, v15 offset:5346
	;; [unrolled: 3-line block ×5, first 2 shown]
	global_load_dwordx2 v[7:8], v7, s[12:13]
	s_mov_b32 s0, 0xcccd
	s_movk_i32 s6, 0x3aee
	s_mov_b32 s7, 0xbaee
	s_movk_i32 s8, 0x97e
	s_waitcnt vmcnt(0) lgkmcnt(13)
	v_mul_f16_sdwa v54, v24, v7 dst_sel:DWORD dst_unused:UNUSED_PAD src0_sel:DWORD src1_sel:WORD_1
	v_fma_f16 v54, v44, v7, -v54
	v_mul_f16_sdwa v44, v44, v7 dst_sel:DWORD dst_unused:UNUSED_PAD src0_sel:DWORD src1_sel:WORD_1
	v_fma_f16 v24, v24, v7, v44
	s_waitcnt lgkmcnt(12)
	v_mul_f16_sdwa v7, v25, v8 dst_sel:DWORD dst_unused:UNUSED_PAD src0_sel:DWORD src1_sel:WORD_1
	v_fma_f16 v44, v45, v8, -v7
	v_mul_f16_sdwa v7, v45, v8 dst_sel:DWORD dst_unused:UNUSED_PAD src0_sel:DWORD src1_sel:WORD_1
	v_fma_f16 v25, v25, v8, v7
	v_mul_u32_u24_sdwa v7, v10, s0 dst_sel:DWORD dst_unused:UNUSED_PAD src0_sel:WORD_0 src1_sel:DWORD
	v_lshrrev_b32_e32 v45, 18, v7
	v_mul_lo_u16_e32 v7, 5, v45
	v_sub_u16_e32 v7, v10, v7
	v_lshlrev_b32_e32 v55, 1, v7
	v_lshlrev_b32_e32 v7, 3, v7
	global_load_dwordx2 v[7:8], v7, s[12:13]
	s_waitcnt vmcnt(0) lgkmcnt(10)
	v_mul_f16_sdwa v56, v27, v7 dst_sel:DWORD dst_unused:UNUSED_PAD src0_sel:DWORD src1_sel:WORD_1
	v_fma_f16 v56, v46, v7, -v56
	v_mul_f16_sdwa v46, v46, v7 dst_sel:DWORD dst_unused:UNUSED_PAD src0_sel:DWORD src1_sel:WORD_1
	v_fma_f16 v27, v27, v7, v46
	s_waitcnt lgkmcnt(9)
	v_mul_f16_sdwa v7, v28, v8 dst_sel:DWORD dst_unused:UNUSED_PAD src0_sel:DWORD src1_sel:WORD_1
	v_fma_f16 v46, v47, v8, -v7
	v_mul_f16_sdwa v7, v47, v8 dst_sel:DWORD dst_unused:UNUSED_PAD src0_sel:DWORD src1_sel:WORD_1
	v_fma_f16 v28, v28, v8, v7
	v_mul_u32_u24_sdwa v7, v13, s0 dst_sel:DWORD dst_unused:UNUSED_PAD src0_sel:WORD_0 src1_sel:DWORD
	v_lshrrev_b32_e32 v47, 18, v7
	v_mul_lo_u16_e32 v7, 5, v47
	v_sub_u16_e32 v7, v13, v7
	v_lshlrev_b32_e32 v57, 1, v7
	v_lshlrev_b32_e32 v7, 3, v7
	global_load_dwordx2 v[7:8], v7, s[12:13]
	s_waitcnt vmcnt(0) lgkmcnt(7)
	v_mul_f16_sdwa v58, v30, v7 dst_sel:DWORD dst_unused:UNUSED_PAD src0_sel:DWORD src1_sel:WORD_1
	v_fma_f16 v58, v48, v7, -v58
	v_mul_f16_sdwa v48, v48, v7 dst_sel:DWORD dst_unused:UNUSED_PAD src0_sel:DWORD src1_sel:WORD_1
	v_fma_f16 v30, v30, v7, v48
	s_waitcnt lgkmcnt(6)
	v_mul_f16_sdwa v7, v32, v8 dst_sel:DWORD dst_unused:UNUSED_PAD src0_sel:DWORD src1_sel:WORD_1
	v_fma_f16 v48, v49, v8, -v7
	v_mul_f16_sdwa v7, v49, v8 dst_sel:DWORD dst_unused:UNUSED_PAD src0_sel:DWORD src1_sel:WORD_1
	v_fma_f16 v32, v32, v8, v7
	v_mul_u32_u24_sdwa v7, v11, s0 dst_sel:DWORD dst_unused:UNUSED_PAD src0_sel:WORD_0 src1_sel:DWORD
	v_lshrrev_b32_e32 v49, 18, v7
	v_mul_lo_u16_e32 v7, 5, v49
	v_sub_u16_e32 v7, v11, v7
	v_lshlrev_b32_e32 v59, 1, v7
	v_lshlrev_b32_e32 v7, 3, v7
	global_load_dwordx2 v[7:8], v7, s[12:13]
	s_waitcnt vmcnt(0) lgkmcnt(4)
	v_mul_f16_sdwa v60, v35, v7 dst_sel:DWORD dst_unused:UNUSED_PAD src0_sel:DWORD src1_sel:WORD_1
	v_fma_f16 v60, v50, v7, -v60
	v_mul_f16_sdwa v50, v50, v7 dst_sel:DWORD dst_unused:UNUSED_PAD src0_sel:DWORD src1_sel:WORD_1
	v_fma_f16 v35, v35, v7, v50
	s_waitcnt lgkmcnt(3)
	v_mul_f16_sdwa v7, v37, v8 dst_sel:DWORD dst_unused:UNUSED_PAD src0_sel:DWORD src1_sel:WORD_1
	v_fma_f16 v50, v51, v8, -v7
	v_mul_f16_sdwa v7, v51, v8 dst_sel:DWORD dst_unused:UNUSED_PAD src0_sel:DWORD src1_sel:WORD_1
	v_fma_f16 v37, v37, v8, v7
	v_mul_u32_u24_sdwa v7, v12, s0 dst_sel:DWORD dst_unused:UNUSED_PAD src0_sel:WORD_0 src1_sel:DWORD
	v_lshrrev_b32_e32 v51, 18, v7
	v_mul_lo_u16_e32 v7, 5, v51
	v_sub_u16_e32 v7, v12, v7
	v_lshlrev_b32_e32 v61, 1, v7
	v_lshlrev_b32_e32 v7, 3, v7
	global_load_dwordx2 v[7:8], v7, s[12:13]
	s_waitcnt vmcnt(0) lgkmcnt(0)
	s_barrier
	s_movk_i32 s0, 0x89
	v_mul_f16_sdwa v62, v39, v7 dst_sel:DWORD dst_unused:UNUSED_PAD src0_sel:DWORD src1_sel:WORD_1
	v_fma_f16 v62, v43, v7, -v62
	v_mul_f16_sdwa v43, v43, v7 dst_sel:DWORD dst_unused:UNUSED_PAD src0_sel:DWORD src1_sel:WORD_1
	v_fma_f16 v7, v39, v7, v43
	v_mul_f16_sdwa v39, v40, v8 dst_sel:DWORD dst_unused:UNUSED_PAD src0_sel:DWORD src1_sel:WORD_1
	v_fma_f16 v39, v42, v8, -v39
	v_mul_f16_sdwa v42, v42, v8 dst_sel:DWORD dst_unused:UNUSED_PAD src0_sel:DWORD src1_sel:WORD_1
	v_fma_f16 v8, v40, v8, v42
	v_add_f16_e32 v42, v54, v44
	v_add_f16_e32 v40, v41, v54
	v_fma_f16 v41, v42, -0.5, v41
	v_sub_f16_e32 v42, v24, v25
	v_fma_f16 v43, v42, s6, v41
	v_fma_f16 v41, v42, s7, v41
	v_add_f16_e32 v42, v22, v24
	v_add_f16_e32 v24, v24, v25
	v_add_f16_e32 v40, v40, v44
	v_fma_f16 v22, v24, -0.5, v22
	v_sub_f16_e32 v24, v54, v44
	v_add_f16_e32 v44, v56, v46
	v_add_f16_e32 v42, v42, v25
	v_fma_f16 v25, v24, s7, v22
	v_fma_f16 v22, v24, s6, v22
	v_add_f16_e32 v24, v36, v56
	v_fma_f16 v36, v44, -0.5, v36
	v_sub_f16_e32 v44, v27, v28
	v_fma_f16 v54, v44, s6, v36
	v_fma_f16 v36, v44, s7, v36
	v_add_f16_e32 v44, v26, v27
	v_add_f16_e32 v27, v27, v28
	v_add_f16_e32 v24, v24, v46
	v_fma_f16 v26, v27, -0.5, v26
	v_sub_f16_e32 v27, v56, v46
	v_add_f16_e32 v46, v58, v48
	v_add_f16_e32 v44, v44, v28
	v_fma_f16 v28, v27, s7, v26
	v_fma_f16 v26, v27, s6, v26
	;; [unrolled: 14-line block ×4, first 2 shown]
	v_add_f16_e32 v35, v23, v62
	v_fma_f16 v23, v50, -0.5, v23
	v_sub_f16_e32 v50, v7, v8
	v_fma_f16 v60, v50, s6, v23
	v_fma_f16 v23, v50, s7, v23
	v_add_f16_e32 v50, v38, v7
	v_add_f16_e32 v7, v7, v8
	;; [unrolled: 1-line block ×3, first 2 shown]
	v_fma_f16 v7, v7, -0.5, v38
	v_sub_f16_e32 v8, v62, v39
	v_fma_f16 v38, v8, s7, v7
	v_fma_f16 v8, v8, s6, v7
	v_mul_u32_u24_e32 v7, 30, v52
	v_add_f16_e32 v35, v35, v39
	v_add3_u32 v39, 0, v7, v53
	v_mul_u32_u24_e32 v7, 30, v45
	ds_write_b16 v39, v40
	ds_write_b16 v39, v43 offset:10
	ds_write_b16 v39, v41 offset:20
	v_add3_u32 v40, 0, v7, v55
	v_mul_u32_u24_e32 v7, 30, v47
	ds_write_b16 v40, v24
	ds_write_b16 v40, v54 offset:10
	ds_write_b16 v40, v36 offset:20
	;; [unrolled: 5-line block ×4, first 2 shown]
	v_add3_u32 v30, 0, v7, v61
	ds_write_b16 v30, v35
	ds_write_b16 v30, v60 offset:10
	ds_write_b16 v30, v23 offset:20
	s_waitcnt lgkmcnt(0)
	s_barrier
	ds_read_u16 v31, v15
	ds_read_u16 v33, v15 offset:2430
	ds_read_u16 v35, v15 offset:4860
	ds_read_u16 v36, v21
	ds_read_u16 v41, v15 offset:2916
	ds_read_u16 v43, v15 offset:5346
	;; [unrolled: 3-line block ×5, first 2 shown]
	s_waitcnt lgkmcnt(0)
	s_barrier
	ds_write_b16 v39, v42
	ds_write_b16 v39, v25 offset:10
	ds_write_b16 v39, v22 offset:20
	ds_write_b16 v40, v44
	ds_write_b16 v40, v28 offset:10
	ds_write_b16 v40, v26 offset:20
	;; [unrolled: 3-line block ×5, first 2 shown]
	v_mul_lo_u16_sdwa v22, v9, s0 dst_sel:DWORD dst_unused:UNUSED_PAD src0_sel:BYTE_0 src1_sel:DWORD
	v_lshrrev_b16_e32 v44, 11, v22
	v_mul_lo_u16_e32 v22, 15, v44
	v_sub_u16_e32 v22, v9, v22
	v_lshlrev_b32_sdwa v46, v5, v22 dst_sel:DWORD dst_unused:UNUSED_PAD src0_sel:DWORD src1_sel:BYTE_0
	v_lshlrev_b32_sdwa v22, v6, v22 dst_sel:DWORD dst_unused:UNUSED_PAD src0_sel:DWORD src1_sel:BYTE_0
	s_waitcnt lgkmcnt(0)
	s_barrier
	ds_read_u16 v8, v15
	ds_read_u16 v24, v15 offset:2430
	ds_read_u16 v25, v15 offset:4860
	ds_read_u16 v26, v21
	ds_read_u16 v27, v15 offset:2916
	ds_read_u16 v28, v15 offset:5346
	;; [unrolled: 3-line block ×5, first 2 shown]
	global_load_dwordx2 v[22:23], v22, s[12:13] offset:40
	s_mov_b32 s0, 0x8889
	s_waitcnt vmcnt(0) lgkmcnt(13)
	v_mul_f16_sdwa v48, v24, v22 dst_sel:DWORD dst_unused:UNUSED_PAD src0_sel:DWORD src1_sel:WORD_1
	v_fma_f16 v48, v33, v22, -v48
	v_mul_f16_sdwa v33, v33, v22 dst_sel:DWORD dst_unused:UNUSED_PAD src0_sel:DWORD src1_sel:WORD_1
	v_fma_f16 v24, v24, v22, v33
	s_waitcnt lgkmcnt(12)
	v_mul_f16_sdwa v22, v25, v23 dst_sel:DWORD dst_unused:UNUSED_PAD src0_sel:DWORD src1_sel:WORD_1
	v_fma_f16 v33, v35, v23, -v22
	v_mul_f16_sdwa v22, v35, v23 dst_sel:DWORD dst_unused:UNUSED_PAD src0_sel:DWORD src1_sel:WORD_1
	v_fma_f16 v25, v25, v23, v22
	v_mul_u32_u24_sdwa v22, v10, s0 dst_sel:DWORD dst_unused:UNUSED_PAD src0_sel:WORD_0 src1_sel:DWORD
	v_lshrrev_b32_e32 v35, 19, v22
	v_mul_lo_u16_e32 v22, 15, v35
	v_sub_u16_e32 v22, v10, v22
	v_lshlrev_b32_e32 v50, 1, v22
	v_lshlrev_b32_e32 v22, 3, v22
	global_load_dwordx2 v[22:23], v22, s[12:13] offset:40
	s_waitcnt vmcnt(0) lgkmcnt(10)
	v_mul_f16_sdwa v56, v27, v22 dst_sel:DWORD dst_unused:UNUSED_PAD src0_sel:DWORD src1_sel:WORD_1
	v_fma_f16 v56, v41, v22, -v56
	v_mul_f16_sdwa v41, v41, v22 dst_sel:DWORD dst_unused:UNUSED_PAD src0_sel:DWORD src1_sel:WORD_1
	v_fma_f16 v27, v27, v22, v41
	s_waitcnt lgkmcnt(9)
	v_mul_f16_sdwa v22, v28, v23 dst_sel:DWORD dst_unused:UNUSED_PAD src0_sel:DWORD src1_sel:WORD_1
	v_fma_f16 v41, v43, v23, -v22
	v_mul_f16_sdwa v22, v43, v23 dst_sel:DWORD dst_unused:UNUSED_PAD src0_sel:DWORD src1_sel:WORD_1
	v_fma_f16 v28, v28, v23, v22
	v_mul_u32_u24_sdwa v22, v13, s0 dst_sel:DWORD dst_unused:UNUSED_PAD src0_sel:WORD_0 src1_sel:DWORD
	v_lshrrev_b32_e32 v43, 19, v22
	v_mul_lo_u16_e32 v22, 15, v43
	v_sub_u16_e32 v22, v13, v22
	v_lshlrev_b32_e32 v57, 1, v22
	v_lshlrev_b32_e32 v22, 3, v22
	global_load_dwordx2 v[22:23], v22, s[12:13] offset:40
	;; [unrolled: 17-line block ×4, first 2 shown]
	s_waitcnt vmcnt(0) lgkmcnt(0)
	s_barrier
	s_movk_i32 s0, 0x6d
	v_mul_f16_sdwa v62, v40, v22 dst_sel:DWORD dst_unused:UNUSED_PAD src0_sel:DWORD src1_sel:WORD_1
	v_fma_f16 v62, v54, v22, -v62
	v_mul_f16_sdwa v54, v54, v22 dst_sel:DWORD dst_unused:UNUSED_PAD src0_sel:DWORD src1_sel:WORD_1
	v_fma_f16 v22, v40, v22, v54
	v_mul_f16_sdwa v40, v42, v23 dst_sel:DWORD dst_unused:UNUSED_PAD src0_sel:DWORD src1_sel:WORD_1
	v_mul_f16_sdwa v54, v55, v23 dst_sel:DWORD dst_unused:UNUSED_PAD src0_sel:DWORD src1_sel:WORD_1
	v_fma_f16 v40, v55, v23, -v40
	v_fma_f16 v23, v42, v23, v54
	v_add_f16_e32 v54, v48, v33
	v_add_f16_e32 v42, v31, v48
	v_fma_f16 v31, v54, -0.5, v31
	v_sub_f16_e32 v54, v24, v25
	v_fma_f16 v55, v54, s6, v31
	v_fma_f16 v31, v54, s7, v31
	v_add_f16_e32 v54, v8, v24
	v_add_f16_e32 v24, v24, v25
	v_add_f16_e32 v42, v42, v33
	v_fma_f16 v8, v24, -0.5, v8
	v_sub_f16_e32 v24, v48, v33
	v_add_f16_e32 v33, v56, v41
	v_add_f16_e32 v54, v54, v25
	v_fma_f16 v25, v24, s7, v8
	v_fma_f16 v8, v24, s6, v8
	v_add_f16_e32 v24, v36, v56
	v_fma_f16 v33, v33, -0.5, v36
	v_sub_f16_e32 v36, v27, v28
	v_fma_f16 v48, v36, s6, v33
	v_fma_f16 v33, v36, s7, v33
	v_add_f16_e32 v36, v26, v27
	v_add_f16_e32 v27, v27, v28
	v_add_f16_e32 v24, v24, v41
	v_fma_f16 v26, v27, -0.5, v26
	v_sub_f16_e32 v27, v56, v41
	v_add_f16_e32 v41, v58, v47
	v_add_f16_e32 v36, v36, v28
	v_fma_f16 v28, v27, s7, v26
	v_fma_f16 v26, v27, s6, v26
	v_add_f16_e32 v27, v45, v58
	v_fma_f16 v41, v41, -0.5, v45
	v_sub_f16_e32 v45, v30, v32
	v_fma_f16 v56, v45, s6, v41
	v_fma_f16 v41, v45, s7, v41
	v_add_f16_e32 v45, v29, v30
	v_add_f16_e32 v30, v30, v32
	v_add_f16_e32 v27, v27, v47
	v_fma_f16 v29, v30, -0.5, v29
	v_sub_f16_e32 v30, v58, v47
	v_add_f16_e32 v47, v60, v52
	v_add_f16_e32 v45, v45, v32
	v_fma_f16 v32, v30, s7, v29
	v_fma_f16 v29, v30, s6, v29
	v_add_f16_e32 v30, v51, v60
	v_fma_f16 v47, v47, -0.5, v51
	v_sub_f16_e32 v51, v37, v38
	v_fma_f16 v58, v51, s6, v47
	v_fma_f16 v47, v51, s7, v47
	v_add_f16_e32 v51, v34, v37
	v_add_f16_e32 v37, v37, v38
	v_add_f16_e32 v30, v30, v52
	v_fma_f16 v34, v37, -0.5, v34
	v_sub_f16_e32 v37, v60, v52
	v_add_f16_e32 v52, v62, v40
	v_add_f16_e32 v51, v51, v38
	v_fma_f16 v38, v37, s7, v34
	v_fma_f16 v34, v37, s6, v34
	v_add_f16_e32 v37, v7, v62
	v_fma_f16 v7, v52, -0.5, v7
	v_sub_f16_e32 v52, v22, v23
	v_fma_f16 v60, v52, s6, v7
	v_fma_f16 v7, v52, s7, v7
	v_add_f16_e32 v52, v39, v22
	v_add_f16_e32 v22, v22, v23
	;; [unrolled: 1-line block ×3, first 2 shown]
	v_fma_f16 v22, v22, -0.5, v39
	v_sub_f16_e32 v23, v62, v40
	v_fma_f16 v39, v23, s7, v22
	v_fma_f16 v22, v23, s6, v22
	v_mul_u32_u24_e32 v23, 0x5a, v44
	v_add3_u32 v23, 0, v23, v46
	ds_write_b16 v23, v42
	ds_write_b16 v23, v55 offset:30
	ds_write_b16 v23, v31 offset:60
	v_mul_u32_u24_e32 v31, 0x5a, v35
	v_add3_u32 v31, 0, v31, v50
	ds_write_b16 v31, v24
	ds_write_b16 v31, v48 offset:30
	ds_write_b16 v31, v33 offset:60
	;; [unrolled: 5-line block ×4, first 2 shown]
	v_mul_u32_u24_e32 v30, 0x5a, v53
	v_add_f16_e32 v37, v37, v40
	v_add3_u32 v30, 0, v30, v61
	ds_write_b16 v30, v37
	ds_write_b16 v30, v60 offset:30
	ds_write_b16 v30, v7 offset:60
	s_waitcnt lgkmcnt(0)
	s_barrier
	ds_read_u16 v33, v15
	ds_read_u16 v35, v15 offset:2430
	ds_read_u16 v37, v15 offset:4860
	ds_read_u16 v40, v21
	ds_read_u16 v41, v15 offset:2916
	ds_read_u16 v42, v15 offset:5346
	;; [unrolled: 3-line block ×5, first 2 shown]
	s_waitcnt lgkmcnt(0)
	s_barrier
	ds_write_b16 v23, v54
	ds_write_b16 v23, v25 offset:30
	ds_write_b16 v23, v8 offset:60
	ds_write_b16 v31, v36
	ds_write_b16 v31, v28 offset:30
	ds_write_b16 v31, v26 offset:60
	;; [unrolled: 3-line block ×5, first 2 shown]
	v_mul_lo_u16_sdwa v39, v9, s0 dst_sel:DWORD dst_unused:UNUSED_PAD src0_sel:BYTE_0 src1_sel:DWORD
	v_sub_u16_sdwa v45, v9, v39 dst_sel:DWORD dst_unused:UNUSED_PAD src0_sel:DWORD src1_sel:BYTE_1
	v_lshrrev_b16_e32 v45, 1, v45
	v_and_b32_e32 v45, 0x7f, v45
	v_add_u16_sdwa v39, v45, v39 dst_sel:DWORD dst_unused:UNUSED_PAD src0_sel:DWORD src1_sel:BYTE_1
	v_lshrrev_b16_e32 v39, 5, v39
	v_mul_lo_u16_e32 v45, 45, v39
	v_sub_u16_e32 v45, v9, v45
	v_lshlrev_b32_sdwa v51, v5, v45 dst_sel:DWORD dst_unused:UNUSED_PAD src0_sel:DWORD src1_sel:BYTE_0
	v_lshlrev_b32_sdwa v5, v6, v45 dst_sel:DWORD dst_unused:UNUSED_PAD src0_sel:DWORD src1_sel:BYTE_0
	s_waitcnt lgkmcnt(0)
	s_barrier
	ds_read_u16 v8, v15
	ds_read_u16 v22, v15 offset:2430
	ds_read_u16 v23, v15 offset:4860
	ds_read_u16 v24, v21
	ds_read_u16 v25, v15 offset:2916
	ds_read_u16 v26, v15 offset:5346
	;; [unrolled: 3-line block ×5, first 2 shown]
	global_load_dwordx2 v[5:6], v5, s[12:13] offset:160
	s_movk_i32 s0, 0x2d83
	s_waitcnt vmcnt(0) lgkmcnt(13)
	v_mul_f16_sdwa v45, v22, v5 dst_sel:DWORD dst_unused:UNUSED_PAD src0_sel:DWORD src1_sel:WORD_1
	v_fma_f16 v45, v35, v5, -v45
	v_mul_f16_sdwa v35, v35, v5 dst_sel:DWORD dst_unused:UNUSED_PAD src0_sel:DWORD src1_sel:WORD_1
	v_fma_f16 v22, v22, v5, v35
	s_waitcnt lgkmcnt(12)
	v_mul_f16_sdwa v5, v23, v6 dst_sel:DWORD dst_unused:UNUSED_PAD src0_sel:DWORD src1_sel:WORD_1
	v_fma_f16 v35, v37, v6, -v5
	v_mul_f16_sdwa v5, v37, v6 dst_sel:DWORD dst_unused:UNUSED_PAD src0_sel:DWORD src1_sel:WORD_1
	v_fma_f16 v23, v23, v6, v5
	v_mul_u32_u24_sdwa v5, v10, s0 dst_sel:DWORD dst_unused:UNUSED_PAD src0_sel:WORD_0 src1_sel:DWORD
	v_lshrrev_b32_e32 v37, 19, v5
	v_mul_lo_u16_e32 v5, 45, v37
	v_sub_u16_e32 v5, v10, v5
	v_lshlrev_b32_e32 v52, 1, v5
	v_lshlrev_b32_e32 v5, 3, v5
	global_load_dwordx2 v[5:6], v5, s[12:13] offset:160
	s_waitcnt vmcnt(0) lgkmcnt(10)
	v_mul_f16_sdwa v54, v25, v5 dst_sel:DWORD dst_unused:UNUSED_PAD src0_sel:DWORD src1_sel:WORD_1
	v_fma_f16 v54, v41, v5, -v54
	v_mul_f16_sdwa v41, v41, v5 dst_sel:DWORD dst_unused:UNUSED_PAD src0_sel:DWORD src1_sel:WORD_1
	v_fma_f16 v25, v25, v5, v41
	s_waitcnt lgkmcnt(9)
	v_mul_f16_sdwa v5, v26, v6 dst_sel:DWORD dst_unused:UNUSED_PAD src0_sel:DWORD src1_sel:WORD_1
	v_fma_f16 v41, v42, v6, -v5
	v_mul_f16_sdwa v5, v42, v6 dst_sel:DWORD dst_unused:UNUSED_PAD src0_sel:DWORD src1_sel:WORD_1
	v_fma_f16 v26, v26, v6, v5
	v_mul_u32_u24_sdwa v5, v13, s0 dst_sel:DWORD dst_unused:UNUSED_PAD src0_sel:WORD_0 src1_sel:DWORD
	v_lshrrev_b32_e32 v42, 19, v5
	v_mul_lo_u16_e32 v5, 45, v42
	v_sub_u16_e32 v5, v13, v5
	v_lshlrev_b32_e32 v55, 1, v5
	v_lshlrev_b32_e32 v5, 3, v5
	global_load_dwordx2 v[5:6], v5, s[12:13] offset:160
	;; [unrolled: 17-line block ×4, first 2 shown]
	s_waitcnt vmcnt(0) lgkmcnt(0)
	s_barrier
	s_movk_i32 s0, 0x87
	v_cmp_gt_u32_e64 s[0:1], s0, v9
	v_mul_f16_sdwa v60, v36, v5 dst_sel:DWORD dst_unused:UNUSED_PAD src0_sel:DWORD src1_sel:WORD_1
	v_fma_f16 v60, v50, v5, -v60
	v_mul_f16_sdwa v50, v50, v5 dst_sel:DWORD dst_unused:UNUSED_PAD src0_sel:DWORD src1_sel:WORD_1
	v_fma_f16 v5, v36, v5, v50
	v_mul_f16_sdwa v36, v38, v6 dst_sel:DWORD dst_unused:UNUSED_PAD src0_sel:DWORD src1_sel:WORD_1
	v_mul_f16_sdwa v50, v53, v6 dst_sel:DWORD dst_unused:UNUSED_PAD src0_sel:DWORD src1_sel:WORD_1
	v_fma_f16 v36, v53, v6, -v36
	v_fma_f16 v6, v38, v6, v50
	v_add_f16_e32 v50, v45, v35
	v_add_f16_e32 v38, v33, v45
	v_fma_f16 v33, v50, -0.5, v33
	v_sub_f16_e32 v50, v22, v23
	v_fma_f16 v53, v50, s6, v33
	v_fma_f16 v33, v50, s7, v33
	v_add_f16_e32 v50, v8, v22
	v_add_f16_e32 v22, v22, v23
	v_add_f16_e32 v38, v38, v35
	v_fma_f16 v8, v22, -0.5, v8
	v_sub_f16_e32 v22, v45, v35
	v_add_f16_e32 v35, v54, v41
	v_add_f16_e32 v50, v50, v23
	v_fma_f16 v23, v22, s7, v8
	v_fma_f16 v8, v22, s6, v8
	v_add_f16_e32 v22, v40, v54
	v_fma_f16 v35, v35, -0.5, v40
	v_sub_f16_e32 v40, v25, v26
	v_fma_f16 v45, v40, s6, v35
	v_fma_f16 v35, v40, s7, v35
	v_add_f16_e32 v40, v24, v25
	v_add_f16_e32 v25, v25, v26
	v_add_f16_e32 v22, v22, v41
	v_fma_f16 v24, v25, -0.5, v24
	v_sub_f16_e32 v25, v54, v41
	v_add_f16_e32 v41, v56, v44
	v_add_f16_e32 v40, v40, v26
	v_fma_f16 v26, v25, s7, v24
	v_fma_f16 v24, v25, s6, v24
	;; [unrolled: 14-line block ×4, first 2 shown]
	v_add_f16_e32 v31, v7, v60
	v_fma_f16 v7, v48, -0.5, v7
	v_sub_f16_e32 v48, v5, v6
	v_fma_f16 v58, v48, s6, v7
	v_fma_f16 v7, v48, s7, v7
	v_add_f16_e32 v48, v34, v5
	v_add_f16_e32 v5, v5, v6
	;; [unrolled: 1-line block ×3, first 2 shown]
	v_fma_f16 v5, v5, -0.5, v34
	v_sub_f16_e32 v6, v60, v36
	v_fma_f16 v34, v6, s7, v5
	v_fma_f16 v5, v6, s6, v5
	v_mul_u32_u24_e32 v6, 0x10e, v39
	v_add3_u32 v6, 0, v6, v51
	ds_write_b16 v6, v38
	ds_write_b16 v6, v53 offset:90
	ds_write_b16 v6, v33 offset:180
	v_mul_u32_u24_e32 v33, 0x10e, v37
	v_add3_u32 v33, 0, v33, v52
	ds_write_b16 v33, v22
	ds_write_b16 v33, v45 offset:90
	ds_write_b16 v33, v35 offset:180
	;; [unrolled: 5-line block ×4, first 2 shown]
	v_mul_u32_u24_e32 v28, 0x10e, v49
	v_add_f16_e32 v31, v31, v36
	v_add3_u32 v28, 0, v28, v59
	ds_write_b16 v28, v31
	ds_write_b16 v28, v58 offset:90
	ds_write_b16 v28, v7 offset:180
	s_waitcnt lgkmcnt(0)
	s_barrier
	ds_read_u16 v31, v15
	ds_read_u16 v35, v15 offset:2430
	ds_read_u16 v36, v15 offset:4860
	ds_read_u16 v37, v21
	ds_read_u16 v38, v15 offset:2916
	ds_read_u16 v39, v15 offset:5346
	;; [unrolled: 3-line block ×5, first 2 shown]
	s_waitcnt lgkmcnt(0)
	s_barrier
	ds_write_b16 v6, v50
	ds_write_b16 v6, v23 offset:90
	ds_write_b16 v6, v8 offset:180
	ds_write_b16 v33, v40
	ds_write_b16 v33, v26 offset:90
	ds_write_b16 v33, v24 offset:180
	;; [unrolled: 3-line block ×5, first 2 shown]
	v_add_u32_e32 v5, 0xffffff79, v9
	v_cndmask_b32_e64 v5, v5, v9, s[0:1]
	v_lshlrev_b32_e32 v5, 1, v5
	v_mov_b32_e32 v6, 0
	v_lshlrev_b64 v[22:23], 2, v[5:6]
	s_waitcnt lgkmcnt(0)
	v_add_co_u32_e64 v24, s[0:1], s12, v22
	v_mov_b32_e32 v22, s13
	v_addc_co_u32_e64 v25, s[0:1], v22, v23, s[0:1]
	s_barrier
	ds_read_u16 v8, v15
	ds_read_u16 v26, v15 offset:2430
	ds_read_u16 v27, v15 offset:4860
	ds_read_u16 v28, v21
	ds_read_u16 v29, v15 offset:2916
	ds_read_u16 v30, v15 offset:5346
	;; [unrolled: 3-line block ×5, first 2 shown]
	global_load_dwordx2 v[23:24], v[24:25], off offset:520
	s_movk_i32 s0, 0x795d
	s_waitcnt vmcnt(0) lgkmcnt(13)
	v_mul_f16_sdwa v25, v26, v23 dst_sel:DWORD dst_unused:UNUSED_PAD src0_sel:DWORD src1_sel:WORD_1
	v_fma_f16 v25, v35, v23, -v25
	v_mul_f16_sdwa v35, v35, v23 dst_sel:DWORD dst_unused:UNUSED_PAD src0_sel:DWORD src1_sel:WORD_1
	v_fma_f16 v26, v26, v23, v35
	s_waitcnt lgkmcnt(12)
	v_mul_f16_sdwa v23, v27, v24 dst_sel:DWORD dst_unused:UNUSED_PAD src0_sel:DWORD src1_sel:WORD_1
	v_fma_f16 v35, v36, v24, -v23
	v_mul_f16_sdwa v23, v36, v24 dst_sel:DWORD dst_unused:UNUSED_PAD src0_sel:DWORD src1_sel:WORD_1
	v_fma_f16 v27, v27, v24, v23
	v_mul_u32_u24_sdwa v23, v10, s0 dst_sel:DWORD dst_unused:UNUSED_PAD src0_sel:WORD_0 src1_sel:DWORD
	v_lshrrev_b32_e32 v36, 22, v23
	v_mul_lo_u16_e32 v23, 0x87, v36
	v_sub_u16_e32 v23, v10, v23
	v_lshlrev_b32_e32 v54, 1, v23
	v_lshlrev_b32_e32 v23, 3, v23
	global_load_dwordx2 v[23:24], v23, s[12:13] offset:520
	s_waitcnt vmcnt(0) lgkmcnt(10)
	v_mul_f16_sdwa v55, v29, v23 dst_sel:DWORD dst_unused:UNUSED_PAD src0_sel:DWORD src1_sel:WORD_1
	v_fma_f16 v55, v38, v23, -v55
	v_mul_f16_sdwa v38, v38, v23 dst_sel:DWORD dst_unused:UNUSED_PAD src0_sel:DWORD src1_sel:WORD_1
	v_fma_f16 v29, v29, v23, v38
	s_waitcnt lgkmcnt(9)
	v_mul_f16_sdwa v23, v30, v24 dst_sel:DWORD dst_unused:UNUSED_PAD src0_sel:DWORD src1_sel:WORD_1
	v_fma_f16 v38, v39, v24, -v23
	v_mul_f16_sdwa v23, v39, v24 dst_sel:DWORD dst_unused:UNUSED_PAD src0_sel:DWORD src1_sel:WORD_1
	v_fma_f16 v30, v30, v24, v23
	v_mul_u32_u24_sdwa v23, v13, s0 dst_sel:DWORD dst_unused:UNUSED_PAD src0_sel:WORD_0 src1_sel:DWORD
	v_lshrrev_b32_e32 v39, 22, v23
	v_mul_lo_u16_e32 v23, 0x87, v39
	v_sub_u16_e32 v23, v13, v23
	v_lshlrev_b32_e32 v56, 1, v23
	v_lshlrev_b32_e32 v23, 3, v23
	global_load_dwordx2 v[23:24], v23, s[12:13] offset:520
	;; [unrolled: 17-line block ×4, first 2 shown]
	s_movk_i32 s0, 0x86
	v_cmp_lt_u32_e64 s[0:1], s0, v9
	s_waitcnt vmcnt(0) lgkmcnt(0)
	s_barrier
	v_mul_f16_sdwa v61, v50, v23 dst_sel:DWORD dst_unused:UNUSED_PAD src0_sel:DWORD src1_sel:WORD_1
	v_fma_f16 v61, v51, v23, -v61
	v_mul_f16_sdwa v51, v51, v23 dst_sel:DWORD dst_unused:UNUSED_PAD src0_sel:DWORD src1_sel:WORD_1
	v_fma_f16 v23, v50, v23, v51
	v_mul_f16_sdwa v50, v53, v24 dst_sel:DWORD dst_unused:UNUSED_PAD src0_sel:DWORD src1_sel:WORD_1
	v_fma_f16 v50, v52, v24, -v50
	v_mul_f16_sdwa v51, v52, v24 dst_sel:DWORD dst_unused:UNUSED_PAD src0_sel:DWORD src1_sel:WORD_1
	v_add_f16_e32 v52, v25, v35
	v_fma_f16 v24, v53, v24, v51
	v_add_f16_e32 v51, v31, v25
	v_fma_f16 v31, v52, -0.5, v31
	v_sub_f16_e32 v52, v26, v27
	v_fma_f16 v53, v52, s6, v31
	v_fma_f16 v31, v52, s7, v31
	v_add_f16_e32 v52, v8, v26
	v_add_f16_e32 v52, v52, v27
	;; [unrolled: 1-line block ×5, first 2 shown]
	v_fma_f16 v8, v26, -0.5, v8
	v_sub_f16_e32 v25, v25, v35
	v_fma_f16 v27, v27, -0.5, v37
	v_sub_f16_e32 v35, v29, v30
	v_fma_f16 v26, v25, s7, v8
	v_fma_f16 v8, v25, s6, v8
	v_add_f16_e32 v25, v37, v55
	v_fma_f16 v37, v35, s6, v27
	v_fma_f16 v27, v35, s7, v27
	v_add_f16_e32 v35, v28, v29
	v_add_f16_e32 v29, v29, v30
	v_add_f16_e32 v25, v25, v38
	v_fma_f16 v28, v29, -0.5, v28
	v_sub_f16_e32 v29, v55, v38
	v_add_f16_e32 v38, v57, v42
	v_add_f16_e32 v35, v35, v30
	v_fma_f16 v30, v29, s7, v28
	v_fma_f16 v28, v29, s6, v28
	v_add_f16_e32 v29, v41, v57
	v_fma_f16 v38, v38, -0.5, v41
	v_sub_f16_e32 v41, v33, v34
	v_fma_f16 v55, v41, s6, v38
	v_fma_f16 v38, v41, s7, v38
	v_add_f16_e32 v41, v32, v33
	v_add_f16_e32 v33, v33, v34
	v_add_f16_e32 v29, v29, v42
	v_fma_f16 v32, v33, -0.5, v32
	v_sub_f16_e32 v33, v57, v42
	v_add_f16_e32 v42, v59, v46
	v_add_f16_e32 v41, v41, v34
	v_fma_f16 v34, v33, s7, v32
	v_fma_f16 v32, v33, s6, v32
	v_add_f16_e32 v33, v45, v59
	v_fma_f16 v42, v42, -0.5, v45
	v_sub_f16_e32 v45, v43, v47
	;; [unrolled: 14-line block ×3, first 2 shown]
	v_fma_f16 v59, v47, s6, v7
	v_fma_f16 v7, v47, s7, v7
	v_add_f16_e32 v47, v48, v23
	v_add_f16_e32 v23, v23, v24
	;; [unrolled: 1-line block ×3, first 2 shown]
	v_fma_f16 v23, v23, -0.5, v48
	v_sub_f16_e32 v24, v61, v50
	v_fma_f16 v48, v24, s7, v23
	v_fma_f16 v23, v24, s6, v23
	v_mov_b32_e32 v24, 0x32a
	v_cndmask_b32_e64 v24, 0, v24, s[0:1]
	v_add3_u32 v5, 0, v24, v5
	v_mul_u32_u24_e32 v24, 0x32a, v36
	v_add3_u32 v24, 0, v24, v54
	ds_write_b16 v5, v51
	ds_write_b16 v5, v53 offset:270
	ds_write_b16 v5, v31 offset:540
	ds_write_b16 v24, v25
	ds_write_b16 v24, v37 offset:270
	ds_write_b16 v24, v27 offset:540
	v_mul_u32_u24_e32 v25, 0x32a, v39
	v_add3_u32 v25, 0, v25, v56
	ds_write_b16 v25, v29
	ds_write_b16 v25, v55 offset:270
	ds_write_b16 v25, v38 offset:540
	v_mul_u32_u24_e32 v27, 0x32a, v44
	v_mul_u32_u24_e32 v29, 0x32a, v49
	v_add_f16_e32 v43, v43, v50
	v_add3_u32 v27, 0, v27, v58
	v_add3_u32 v29, 0, v29, v60
	ds_write_b16 v27, v33
	ds_write_b16 v27, v57 offset:270
	ds_write_b16 v27, v42 offset:540
	ds_write_b16 v29, v43
	ds_write_b16 v29, v59 offset:270
	ds_write_b16 v29, v7 offset:540
	s_waitcnt lgkmcnt(0)
	s_barrier
	ds_read_u16 v31, v15
	ds_read_u16 v33, v15 offset:2430
	ds_read_u16 v36, v15 offset:4860
	ds_read_u16 v37, v21
	ds_read_u16 v38, v15 offset:2916
	ds_read_u16 v39, v15 offset:5346
	;; [unrolled: 3-line block ×5, first 2 shown]
	s_waitcnt lgkmcnt(0)
	s_barrier
	ds_write_b16 v5, v52
	ds_write_b16 v5, v26 offset:270
	ds_write_b16 v5, v8 offset:540
	ds_write_b16 v24, v35
	ds_write_b16 v24, v30 offset:270
	ds_write_b16 v24, v28 offset:540
	;; [unrolled: 3-line block ×5, first 2 shown]
	v_lshlrev_b32_e32 v5, 1, v9
	v_lshlrev_b64 v[7:8], 2, v[5:6]
	s_waitcnt lgkmcnt(0)
	v_add_co_u32_e64 v7, s[0:1], s12, v7
	v_addc_co_u32_e64 v8, s[0:1], v22, v8, s[0:1]
	s_barrier
	ds_read_u16 v26, v15
	ds_read_u16 v25, v15 offset:2430
	ds_read_u16 v27, v15 offset:4860
	ds_read_u16 v28, v21
	ds_read_u16 v29, v15 offset:2916
	ds_read_u16 v30, v15 offset:5346
	;; [unrolled: 3-line block ×5, first 2 shown]
	global_load_dwordx2 v[23:24], v[7:8], off offset:1600
	s_movk_i32 s0, 0xa2
	v_cmp_gt_u32_e64 s[0:1], s0, v9
	s_waitcnt vmcnt(0) lgkmcnt(13)
	v_mul_f16_sdwa v52, v25, v23 dst_sel:DWORD dst_unused:UNUSED_PAD src0_sel:DWORD src1_sel:WORD_1
	v_fma_f16 v52, v33, v23, -v52
	v_mul_f16_sdwa v33, v33, v23 dst_sel:DWORD dst_unused:UNUSED_PAD src0_sel:DWORD src1_sel:WORD_1
	v_fma_f16 v33, v25, v23, v33
	s_waitcnt lgkmcnt(12)
	v_mul_f16_sdwa v23, v27, v24 dst_sel:DWORD dst_unused:UNUSED_PAD src0_sel:DWORD src1_sel:WORD_1
	v_fma_f16 v56, v36, v24, -v23
	v_mul_f16_sdwa v23, v36, v24 dst_sel:DWORD dst_unused:UNUSED_PAD src0_sel:DWORD src1_sel:WORD_1
	v_fma_f16 v27, v27, v24, v23
	v_add_u32_e32 v23, 0xffffff5e, v9
	v_cndmask_b32_e64 v23, v23, v10, s[0:1]
	v_lshlrev_b32_e32 v23, 1, v23
	v_mov_b32_e32 v24, v6
	v_lshlrev_b64 v[24:25], 2, v[23:24]
	v_add_co_u32_e64 v24, s[0:1], s12, v24
	v_addc_co_u32_e64 v25, s[0:1], v22, v25, s[0:1]
	global_load_dwordx2 v[24:25], v[24:25], off offset:1600
	s_waitcnt vmcnt(0) lgkmcnt(10)
	v_mul_f16_sdwa v36, v29, v24 dst_sel:DWORD dst_unused:UNUSED_PAD src0_sel:DWORD src1_sel:WORD_1
	v_fma_f16 v36, v38, v24, -v36
	v_mul_f16_sdwa v38, v38, v24 dst_sel:DWORD dst_unused:UNUSED_PAD src0_sel:DWORD src1_sel:WORD_1
	v_fma_f16 v29, v29, v24, v38
	s_waitcnt lgkmcnt(9)
	v_mul_f16_sdwa v24, v30, v25 dst_sel:DWORD dst_unused:UNUSED_PAD src0_sel:DWORD src1_sel:WORD_1
	v_fma_f16 v38, v39, v25, -v24
	v_mul_f16_sdwa v24, v39, v25 dst_sel:DWORD dst_unused:UNUSED_PAD src0_sel:DWORD src1_sel:WORD_1
	v_fma_f16 v30, v30, v25, v24
	v_add_u32_e32 v24, 0xa2, v5
	v_mov_b32_e32 v25, v6
	v_lshlrev_b64 v[24:25], 2, v[24:25]
	v_add_u32_e32 v5, 0, v5
	v_add_co_u32_e64 v24, s[0:1], s12, v24
	v_addc_co_u32_e64 v25, s[0:1], v22, v25, s[0:1]
	global_load_dwordx2 v[24:25], v[24:25], off offset:1600
	s_movk_i32 s0, 0x43a3
	s_movk_i32 s1, 0x195
	s_waitcnt vmcnt(0) lgkmcnt(7)
	v_mul_f16_sdwa v22, v34, v24 dst_sel:DWORD dst_unused:UNUSED_PAD src0_sel:DWORD src1_sel:WORD_1
	v_mul_f16_sdwa v39, v43, v24 dst_sel:DWORD dst_unused:UNUSED_PAD src0_sel:DWORD src1_sel:WORD_1
	v_fma_f16 v22, v43, v24, -v22
	v_fma_f16 v34, v34, v24, v39
	s_waitcnt lgkmcnt(6)
	v_mul_f16_sdwa v24, v35, v25 dst_sel:DWORD dst_unused:UNUSED_PAD src0_sel:DWORD src1_sel:WORD_1
	v_fma_f16 v39, v44, v25, -v24
	v_mul_f16_sdwa v24, v44, v25 dst_sel:DWORD dst_unused:UNUSED_PAD src0_sel:DWORD src1_sel:WORD_1
	v_fma_f16 v35, v35, v25, v24
	v_mul_u32_u24_sdwa v24, v11, s0 dst_sel:DWORD dst_unused:UNUSED_PAD src0_sel:WORD_0 src1_sel:DWORD
	v_sub_u16_sdwa v25, v11, v24 dst_sel:DWORD dst_unused:UNUSED_PAD src0_sel:DWORD src1_sel:WORD_1
	v_lshrrev_b16_e32 v25, 1, v25
	v_add_u16_sdwa v43, v25, v24 dst_sel:DWORD dst_unused:UNUSED_PAD src0_sel:DWORD src1_sel:WORD_1
	v_mul_lo_u16_sdwa v24, v43, s1 dst_sel:DWORD dst_unused:UNUSED_PAD src0_sel:BYTE_1 src1_sel:DWORD
	v_sub_u16_e32 v24, v11, v24
	v_lshlrev_b32_e32 v44, 1, v24
	v_lshlrev_b32_e32 v24, 3, v24
	global_load_dwordx2 v[24:25], v24, s[12:13] offset:1600
	s_waitcnt vmcnt(0) lgkmcnt(4)
	v_mul_f16_sdwa v57, v41, v24 dst_sel:DWORD dst_unused:UNUSED_PAD src0_sel:DWORD src1_sel:WORD_1
	v_fma_f16 v57, v50, v24, -v57
	v_mul_f16_sdwa v50, v50, v24 dst_sel:DWORD dst_unused:UNUSED_PAD src0_sel:DWORD src1_sel:WORD_1
	v_fma_f16 v41, v41, v24, v50
	s_waitcnt lgkmcnt(3)
	v_mul_f16_sdwa v24, v45, v25 dst_sel:DWORD dst_unused:UNUSED_PAD src0_sel:DWORD src1_sel:WORD_1
	v_fma_f16 v50, v51, v25, -v24
	v_mul_f16_sdwa v24, v51, v25 dst_sel:DWORD dst_unused:UNUSED_PAD src0_sel:DWORD src1_sel:WORD_1
	v_fma_f16 v45, v45, v25, v24
	v_mul_u32_u24_sdwa v24, v12, s0 dst_sel:DWORD dst_unused:UNUSED_PAD src0_sel:WORD_0 src1_sel:DWORD
	v_sub_u16_sdwa v25, v12, v24 dst_sel:DWORD dst_unused:UNUSED_PAD src0_sel:DWORD src1_sel:WORD_1
	v_lshrrev_b16_e32 v25, 1, v25
	v_add_u16_sdwa v24, v25, v24 dst_sel:DWORD dst_unused:UNUSED_PAD src0_sel:DWORD src1_sel:WORD_1
	v_mul_lo_u16_sdwa v24, v24, s1 dst_sel:DWORD dst_unused:UNUSED_PAD src0_sel:BYTE_1 src1_sel:DWORD
	v_sub_u16_e32 v51, v12, v24
	v_lshlrev_b32_e32 v24, 3, v51
	global_load_dwordx2 v[24:25], v24, s[12:13] offset:1600
	s_movk_i32 s0, 0xa1
	v_cmp_lt_u32_e64 s[0:1], s0, v9
	s_waitcnt vmcnt(0) lgkmcnt(0)
	s_barrier
	v_mul_f16_sdwa v58, v47, v24 dst_sel:DWORD dst_unused:UNUSED_PAD src0_sel:DWORD src1_sel:WORD_1
	v_fma_f16 v58, v54, v24, -v58
	v_mul_f16_sdwa v54, v54, v24 dst_sel:DWORD dst_unused:UNUSED_PAD src0_sel:DWORD src1_sel:WORD_1
	v_fma_f16 v24, v47, v24, v54
	v_mul_f16_sdwa v47, v48, v25 dst_sel:DWORD dst_unused:UNUSED_PAD src0_sel:DWORD src1_sel:WORD_1
	v_mul_f16_sdwa v54, v55, v25 dst_sel:DWORD dst_unused:UNUSED_PAD src0_sel:DWORD src1_sel:WORD_1
	v_fma_f16 v47, v55, v25, -v47
	v_fma_f16 v25, v48, v25, v54
	v_add_f16_e32 v54, v52, v56
	v_add_f16_e32 v48, v31, v52
	v_fma_f16 v31, v54, -0.5, v31
	v_sub_f16_e32 v54, v33, v27
	v_fma_f16 v55, v54, s6, v31
	v_fma_f16 v31, v54, s7, v31
	v_add_f16_e32 v54, v26, v33
	v_add_f16_e32 v54, v54, v27
	;; [unrolled: 1-line block ×3, first 2 shown]
	v_fma_f16 v26, v27, -0.5, v26
	v_sub_f16_e32 v27, v52, v56
	v_add_f16_e32 v48, v48, v56
	v_fma_f16 v52, v27, s7, v26
	v_fma_f16 v56, v27, s6, v26
	v_add_f16_e32 v27, v36, v38
	v_fma_f16 v27, v27, -0.5, v37
	v_sub_f16_e32 v33, v29, v30
	v_add_f16_e32 v26, v37, v36
	v_fma_f16 v37, v33, s6, v27
	v_fma_f16 v27, v33, s7, v27
	v_add_f16_e32 v33, v28, v29
	v_add_f16_e32 v29, v29, v30
	v_fma_f16 v28, v29, -0.5, v28
	v_sub_f16_e32 v29, v36, v38
	v_add_f16_e32 v26, v26, v38
	v_fma_f16 v36, v29, s7, v28
	v_fma_f16 v38, v29, s6, v28
	v_add_f16_e32 v29, v22, v39
	v_add_f16_e32 v59, v33, v30
	v_fma_f16 v29, v29, -0.5, v42
	v_sub_f16_e32 v30, v34, v35
	v_fma_f16 v33, v30, s6, v29
	v_fma_f16 v29, v30, s7, v29
	v_add_f16_e32 v30, v32, v34
	v_add_f16_e32 v28, v42, v22
	;; [unrolled: 1-line block ×4, first 2 shown]
	v_fma_f16 v30, v30, -0.5, v32
	v_sub_f16_e32 v22, v22, v39
	v_add_f16_e32 v28, v28, v39
	v_fma_f16 v35, v22, s7, v30
	v_fma_f16 v39, v22, s6, v30
	v_add_f16_e32 v30, v57, v50
	v_fma_f16 v30, v30, -0.5, v49
	v_sub_f16_e32 v32, v41, v45
	v_fma_f16 v34, v32, s6, v30
	v_fma_f16 v30, v32, s7, v30
	v_add_f16_e32 v32, v40, v41
	v_add_f16_e32 v22, v49, v57
	;; [unrolled: 1-line block ×6, first 2 shown]
	v_fma_f16 v32, v32, -0.5, v40
	v_sub_f16_e32 v40, v57, v50
	v_fma_f16 v45, v45, -0.5, v53
	v_sub_f16_e32 v50, v24, v25
	v_fma_f16 v41, v40, s7, v32
	v_fma_f16 v40, v40, s6, v32
	v_add_f16_e32 v32, v53, v58
	v_fma_f16 v53, v50, s6, v45
	v_fma_f16 v45, v50, s7, v45
	v_add_f16_e32 v50, v46, v24
	v_add_f16_e32 v24, v24, v25
	;; [unrolled: 1-line block ×3, first 2 shown]
	v_fma_f16 v24, v24, -0.5, v46
	v_sub_f16_e32 v25, v58, v47
	v_add_f16_e32 v32, v32, v47
	v_fma_f16 v46, v25, s7, v24
	v_fma_f16 v47, v25, s6, v24
	v_mov_b32_e32 v24, 0x97e
	v_cndmask_b32_e64 v24, 0, v24, s[0:1]
	ds_write_b16 v15, v48
	ds_write_b16 v15, v55 offset:810
	ds_write_b16 v15, v31 offset:1620
	v_add3_u32 v48, 0, v24, v23
	v_mul_u32_u24_sdwa v23, v43, s8 dst_sel:DWORD dst_unused:UNUSED_PAD src0_sel:BYTE_1 src1_sel:DWORD
	ds_write_b16 v48, v26
	ds_write_b16 v48, v37 offset:810
	ds_write_b16 v48, v27 offset:1620
	v_add3_u32 v37, 0, v23, v44
	v_lshl_add_u32 v43, v51, 1, 0
	ds_write_b16 v5, v28 offset:2592
	ds_write_b16 v5, v33 offset:3402
	;; [unrolled: 1-line block ×3, first 2 shown]
	ds_write_b16 v37, v22
	ds_write_b16 v37, v34 offset:810
	ds_write_b16 v37, v30 offset:1620
	ds_write_b16 v43, v32 offset:4860
	ds_write_b16 v43, v53 offset:5670
	ds_write_b16 v43, v45 offset:6480
	s_waitcnt lgkmcnt(0)
	s_barrier
	ds_read_u16 v22, v15
	ds_read_u16 v24, v15 offset:2430
	ds_read_u16 v23, v15 offset:4860
	ds_read_u16 v21, v21
	ds_read_u16 v25, v15 offset:2916
	ds_read_u16 v26, v15 offset:5346
	ds_read_u16 v20, v20
	ds_read_u16 v28, v15 offset:3402
	ds_read_u16 v27, v15 offset:5832
	ds_read_u16 v29, v16
	ds_read_u16 v30, v15 offset:3888
	ds_read_u16 v31, v15 offset:6318
	ds_read_u16 v32, v17
	ds_read_u16 v33, v15 offset:4374
	ds_read_u16 v34, v15 offset:6804
	s_waitcnt lgkmcnt(0)
	s_barrier
	ds_write_b16 v15, v54
	ds_write_b16 v15, v52 offset:810
	ds_write_b16 v15, v56 offset:1620
	ds_write_b16 v48, v59
	ds_write_b16 v48, v36 offset:810
	ds_write_b16 v48, v38 offset:1620
	;; [unrolled: 1-line block ×5, first 2 shown]
	ds_write_b16 v37, v49
	ds_write_b16 v37, v41 offset:810
	ds_write_b16 v37, v40 offset:1620
	;; [unrolled: 1-line block ×5, first 2 shown]
	s_waitcnt lgkmcnt(0)
	s_barrier
	s_and_saveexec_b64 s[0:1], vcc
	s_cbranch_execz .LBB0_15
; %bb.14:
	v_lshlrev_b32_e32 v5, 1, v12
	v_lshlrev_b64 v[35:36], 2, v[5:6]
	v_mov_b32_e32 v37, s13
	v_add_co_u32_e32 v5, vcc, s12, v35
	v_addc_co_u32_e32 v12, vcc, v37, v36, vcc
	v_add_co_u32_e32 v35, vcc, 0x1000, v5
	v_lshlrev_b32_e32 v5, 1, v11
	v_addc_co_u32_e32 v36, vcc, 0, v12, vcc
	v_lshlrev_b64 v[11:12], 2, v[5:6]
	global_load_dwordx2 v[35:36], v[35:36], off offset:744
	v_add_co_u32_e32 v5, vcc, s12, v11
	s_movk_i32 s8, 0x1000
	v_addc_co_u32_e32 v12, vcc, v37, v12, vcc
	v_add_co_u32_e32 v11, vcc, s8, v5
	v_addc_co_u32_e32 v12, vcc, 0, v12, vcc
	v_lshlrev_b32_e32 v5, 1, v13
	global_load_dwordx2 v[11:12], v[11:12], off offset:744
	v_sub_u32_e32 v38, 0, v18
	v_sub_u32_e32 v39, 0, v19
	v_lshlrev_b64 v[18:19], 2, v[5:6]
	v_mul_lo_u32 v40, s4, v4
	v_add_co_u32_e32 v5, vcc, s12, v18
	v_addc_co_u32_e32 v13, vcc, v37, v19, vcc
	v_add_co_u32_e32 v18, vcc, s8, v5
	v_addc_co_u32_e32 v19, vcc, 0, v13, vcc
	global_load_dwordx2 v[18:19], v[18:19], off offset:744
	v_lshlrev_b32_e32 v5, 1, v10
	v_add_co_u32_e32 v7, vcc, s8, v7
	v_lshlrev_b64 v[5:6], 2, v[5:6]
	v_addc_co_u32_e32 v8, vcc, 0, v8, vcc
	v_add_co_u32_e32 v5, vcc, s12, v5
	v_addc_co_u32_e32 v6, vcc, v37, v6, vcc
	v_add_co_u32_e32 v5, vcc, s8, v5
	v_addc_co_u32_e32 v6, vcc, 0, v6, vcc
	ds_read_u16 v17, v17
	ds_read_u16 v16, v16
	ds_read_u16 v41, v15 offset:6804
	ds_read_u16 v42, v15 offset:6318
	ds_read_u16 v43, v15 offset:5346
	ds_read_u16 v44, v15 offset:4860
	global_load_dwordx2 v[7:8], v[7:8], off offset:744
	ds_read_u16 v10, v15 offset:4374
	global_load_dwordx2 v[5:6], v[5:6], off offset:744
	v_mul_lo_u32 v13, s5, v3
	v_mad_u64_u32 v[3:4], s[0:1], s4, v3, 0
	v_add_u32_e32 v14, v14, v39
	ds_read_u16 v14, v14
	v_add3_u32 v4, v4, v40, v13
	ds_read_u16 v40, v15 offset:3888
	v_add_u32_e32 v0, v0, v38
	s_mov_b32 s0, 0x1af83441
	v_lshlrev_b64 v[3:4], 2, v[3:4]
	s_waitcnt vmcnt(4)
	v_lshrrev_b32_e32 v13, 16, v35
	v_lshrrev_b32_e32 v37, 16, v36
	s_waitcnt lgkmcnt(2)
	v_mul_f16_e32 v45, v35, v10
	v_mul_f16_e32 v46, v36, v41
	v_mul_f16_e32 v10, v13, v10
	v_mul_f16_e32 v41, v37, v41
	v_fma_f16 v13, v33, v13, v45
	v_fma_f16 v37, v34, v37, v46
	v_fma_f16 v10, v33, v35, -v10
	v_fma_f16 v33, v34, v36, -v41
	v_add_f16_e32 v34, v13, v37
	v_add_f16_e32 v35, v13, v17
	v_fma_f16 v17, v34, -0.5, v17
	v_add_f16_e32 v34, v37, v35
	v_add_f16_e32 v35, v10, v33
	v_sub_f16_e32 v13, v13, v37
	v_sub_f16_e32 v36, v10, v33
	v_add_f16_e32 v10, v32, v10
	v_fma_f16 v32, v35, -0.5, v32
	ds_read_u16 v35, v15 offset:3402
	s_waitcnt vmcnt(3)
	v_lshrrev_b32_e32 v47, 16, v11
	v_add_f16_e32 v10, v10, v33
	v_fma_f16 v33, v13, s7, v32
	v_fma_f16 v13, v13, s6, v32
	v_lshrrev_b32_e32 v32, 16, v12
	v_fma_f16 v37, v36, s6, v17
	v_fma_f16 v17, v36, s7, v17
	s_waitcnt lgkmcnt(1)
	v_mul_f16_e32 v36, v47, v40
	v_mul_f16_e32 v45, v32, v42
	v_fma_f16 v36, v30, v11, -v36
	ds_read_u16 v41, v15 offset:5832
	v_fma_f16 v45, v31, v12, -v45
	v_mul_f16_e32 v11, v11, v40
	ds_read_u16 v40, v15 offset:2916
	v_mul_f16_e32 v12, v12, v42
	v_fma_f16 v11, v30, v47, v11
	v_fma_f16 v12, v31, v32, v12
	v_add_f16_e32 v30, v11, v12
	v_add_f16_e32 v32, v36, v45
	v_fma_f16 v30, v30, -0.5, v16
	v_add_f16_e32 v16, v11, v16
	v_fma_f16 v32, v32, -0.5, v29
	v_sub_f16_e32 v11, v11, v12
	v_sub_f16_e32 v46, v36, v45
	v_add_f16_e32 v16, v12, v16
	v_fma_f16 v12, v11, s7, v32
	v_fma_f16 v11, v11, s6, v32
	v_add_f16_e32 v29, v29, v36
	s_waitcnt vmcnt(2)
	v_lshrrev_b32_e32 v32, 16, v18
	v_lshrrev_b32_e32 v36, 16, v19
	v_add_f16_e32 v29, v29, v45
	s_waitcnt lgkmcnt(2)
	v_mul_f16_e32 v42, v32, v35
	s_waitcnt lgkmcnt(1)
	v_mul_f16_e32 v45, v36, v41
	v_fma_f16 v42, v28, v18, -v42
	v_fma_f16 v45, v27, v19, -v45
	v_mul_f16_e32 v18, v18, v35
	v_mul_f16_e32 v19, v19, v41
	v_fma_f16 v18, v28, v32, v18
	v_fma_f16 v19, v27, v36, v19
	ds_read_u16 v36, v15 offset:2430
	v_add_f16_e32 v27, v18, v19
	v_add_f16_e32 v32, v42, v45
	v_fma_f16 v32, v32, -0.5, v20
	ds_read_u16 v0, v0
	v_fma_f16 v27, v27, -0.5, v14
	v_add_f16_e32 v14, v18, v14
	v_sub_f16_e32 v18, v18, v19
	v_add_f16_e32 v14, v19, v14
	v_fma_f16 v19, v18, s7, v32
	v_fma_f16 v18, v18, s6, v32
	s_waitcnt vmcnt(0)
	v_lshrrev_b32_e32 v32, 16, v5
	v_lshrrev_b32_e32 v35, 16, v6
	s_waitcnt lgkmcnt(2)
	v_mul_f16_e32 v39, v32, v40
	v_mul_f16_e32 v41, v35, v43
	v_fma_f16 v39, v25, v5, -v39
	v_fma_f16 v41, v26, v6, -v41
	v_mul_f16_e32 v5, v5, v40
	v_mul_f16_e32 v6, v6, v43
	v_fma_f16 v5, v25, v32, v5
	v_fma_f16 v6, v26, v35, v6
	v_add_f16_e32 v25, v5, v6
	s_waitcnt lgkmcnt(0)
	v_fma_f16 v25, v25, -0.5, v0
	v_add_f16_e32 v0, v5, v0
	v_add_f16_e32 v32, v6, v0
	v_add_f16_e32 v0, v39, v41
	v_fma_f16 v0, v0, -0.5, v21
	v_sub_f16_e32 v5, v5, v6
	v_fma_f16 v35, v5, s7, v0
	v_fma_f16 v38, v5, s6, v0
	v_add_f16_e32 v0, v21, v39
	v_add_f16_e32 v21, v0, v41
	v_lshrrev_b32_e32 v0, 16, v7
	ds_read_u16 v6, v15
	v_mul_f16_e32 v15, v0, v36
	v_fma_f16 v15, v24, v7, -v15
	v_mul_f16_e32 v7, v7, v36
	v_lshrrev_b32_e32 v5, 16, v8
	v_fma_f16 v0, v24, v0, v7
	v_mul_f16_e32 v7, v8, v44
	v_fma_f16 v31, v46, s6, v30
	v_fma_f16 v30, v46, s7, v30
	v_sub_f16_e32 v46, v42, v45
	v_add_f16_e32 v20, v20, v42
	v_sub_f16_e32 v42, v39, v41
	v_mul_f16_e32 v39, v5, v44
	v_fma_f16 v7, v23, v5, v7
	v_fma_f16 v39, v23, v8, -v39
	v_add_f16_e32 v5, v0, v7
	v_sub_f16_e32 v40, v15, v39
	s_waitcnt lgkmcnt(0)
	v_fma_f16 v5, v5, -0.5, v6
	v_fma_f16 v8, v40, s6, v5
	v_fma_f16 v23, v40, s7, v5
	v_mul_hi_u32 v5, v9, s0
	v_add_f16_e32 v6, v0, v6
	v_add_f16_e32 v24, v7, v6
	;; [unrolled: 1-line block ×3, first 2 shown]
	v_lshrrev_b32_e32 v5, 7, v5
	v_mul_u32_u24_e32 v5, 0x4bf, v5
	v_sub_u32_e32 v40, v9, v5
	v_mad_u64_u32 v[5:6], s[4:5], s2, v40, 0
	v_sub_f16_e32 v41, v0, v7
	v_fma_f16 v36, v36, -0.5, v22
	v_mov_b32_e32 v0, v6
	v_mad_u64_u32 v[6:7], s[4:5], s3, v40, v[0:1]
	v_add_f16_e32 v0, v22, v15
	v_fma_f16 v26, v42, s6, v25
	v_fma_f16 v25, v42, s7, v25
	v_fma_f16 v42, v41, s7, v36
	v_fma_f16 v7, v41, s6, v36
	v_add_f16_e32 v15, v0, v39
	v_mov_b32_e32 v0, s11
	v_add_co_u32_e32 v22, vcc, s10, v3
	v_add_u32_e32 v36, 0x4bf, v40
	v_addc_co_u32_e32 v4, vcc, v0, v4, vcc
	v_lshlrev_b64 v[0:1], 2, v[1:2]
	v_mad_u64_u32 v[2:3], s[4:5], s2, v36, 0
	v_add_co_u32_e32 v22, vcc, v22, v0
	v_addc_co_u32_e32 v39, vcc, v4, v1, vcc
	v_lshlrev_b64 v[0:1], 2, v[5:6]
	v_mad_u64_u32 v[3:4], s[4:5], s3, v36, v[3:4]
	v_add_co_u32_e32 v0, vcc, v22, v0
	v_addc_co_u32_e32 v1, vcc, v39, v1, vcc
	v_pack_b32_f16 v4, v15, v24
	global_store_dword v[0:1], v4, off
	v_add_u32_e32 v4, 0x97e, v40
	v_lshlrev_b64 v[0:1], 2, v[2:3]
	v_mad_u64_u32 v[2:3], s[4:5], s2, v4, 0
	v_add_co_u32_e32 v0, vcc, v22, v0
	v_mad_u64_u32 v[3:4], s[4:5], s3, v4, v[3:4]
	v_add_u32_e32 v4, 0xf3, v9
	v_mul_hi_u32 v6, v4, s0
	v_addc_co_u32_e32 v1, vcc, v39, v1, vcc
	v_pack_b32_f16 v5, v7, v23
	global_store_dword v[0:1], v5, off
	v_lshlrev_b64 v[0:1], 2, v[2:3]
	v_lshrrev_b32_e32 v2, 7, v6
	v_mul_u32_u24_e32 v3, 0x4bf, v2
	v_fma_f16 v28, v46, s6, v27
	v_sub_u32_e32 v3, v4, v3
	s_movk_i32 s6, 0xe3d
	v_mad_u32_u24 v6, v2, s6, v3
	v_mad_u64_u32 v[2:3], s[4:5], s2, v6, 0
	v_pack_b32_f16 v7, v42, v8
	v_add_u32_e32 v8, 0x4bf, v6
	v_mad_u64_u32 v[3:4], s[4:5], s3, v6, v[3:4]
	v_mad_u64_u32 v[4:5], s[4:5], s2, v8, 0
	v_add_co_u32_e32 v0, vcc, v22, v0
	v_addc_co_u32_e32 v1, vcc, v39, v1, vcc
	global_store_dword v[0:1], v7, off
	v_lshlrev_b64 v[0:1], 2, v[2:3]
	v_mov_b32_e32 v2, v5
	v_mad_u64_u32 v[2:3], s[4:5], s3, v8, v[2:3]
	v_add_co_u32_e32 v0, vcc, v22, v0
	v_addc_co_u32_e32 v1, vcc, v39, v1, vcc
	v_pack_b32_f16 v3, v21, v32
	v_mov_b32_e32 v5, v2
	global_store_dword v[0:1], v3, off
	v_lshlrev_b64 v[0:1], 2, v[4:5]
	v_add_u32_e32 v4, 0x97e, v6
	v_mad_u64_u32 v[2:3], s[4:5], s2, v4, 0
	v_add_co_u32_e32 v0, vcc, v22, v0
	v_mad_u64_u32 v[3:4], s[4:5], s3, v4, v[3:4]
	v_add_u32_e32 v4, 0x1e6, v9
	v_mul_hi_u32 v6, v4, s0
	v_addc_co_u32_e32 v1, vcc, v39, v1, vcc
	v_pack_b32_f16 v5, v38, v25
	global_store_dword v[0:1], v5, off
	v_lshlrev_b64 v[0:1], 2, v[2:3]
	v_lshrrev_b32_e32 v2, 7, v6
	v_mul_u32_u24_e32 v3, 0x4bf, v2
	v_sub_u32_e32 v3, v4, v3
	v_mad_u32_u24 v6, v2, s6, v3
	v_mad_u64_u32 v[2:3], s[4:5], s2, v6, 0
	v_add_u32_e32 v8, 0x4bf, v6
	v_add_co_u32_e32 v0, vcc, v22, v0
	v_mad_u64_u32 v[3:4], s[4:5], s3, v6, v[3:4]
	v_mad_u64_u32 v[4:5], s[4:5], s2, v8, 0
	v_addc_co_u32_e32 v1, vcc, v39, v1, vcc
	v_pack_b32_f16 v7, v35, v26
	global_store_dword v[0:1], v7, off
	v_lshlrev_b64 v[0:1], 2, v[2:3]
	v_mov_b32_e32 v2, v5
	v_mad_u64_u32 v[2:3], s[4:5], s3, v8, v[2:3]
	v_add_f16_e32 v20, v20, v45
	v_add_co_u32_e32 v0, vcc, v22, v0
	v_addc_co_u32_e32 v1, vcc, v39, v1, vcc
	v_pack_b32_f16 v3, v20, v14
	v_mov_b32_e32 v5, v2
	global_store_dword v[0:1], v3, off
	v_lshlrev_b64 v[0:1], 2, v[4:5]
	v_add_u32_e32 v4, 0x97e, v6
	v_mad_u64_u32 v[2:3], s[4:5], s2, v4, 0
	v_fma_f16 v27, v46, s7, v27
	v_add_co_u32_e32 v0, vcc, v22, v0
	v_mad_u64_u32 v[3:4], s[4:5], s3, v4, v[3:4]
	v_add_u32_e32 v4, 0x2d9, v9
	v_mul_hi_u32 v6, v4, s0
	v_addc_co_u32_e32 v1, vcc, v39, v1, vcc
	v_pack_b32_f16 v5, v18, v27
	global_store_dword v[0:1], v5, off
	v_lshlrev_b64 v[0:1], 2, v[2:3]
	v_lshrrev_b32_e32 v2, 7, v6
	v_mul_u32_u24_e32 v3, 0x4bf, v2
	v_sub_u32_e32 v3, v4, v3
	v_mad_u32_u24 v6, v2, s6, v3
	v_mad_u64_u32 v[2:3], s[4:5], s2, v6, 0
	v_add_u32_e32 v8, 0x4bf, v6
	v_add_co_u32_e32 v0, vcc, v22, v0
	v_mad_u64_u32 v[3:4], s[4:5], s3, v6, v[3:4]
	v_mad_u64_u32 v[4:5], s[4:5], s2, v8, 0
	v_addc_co_u32_e32 v1, vcc, v39, v1, vcc
	v_pack_b32_f16 v7, v19, v28
	global_store_dword v[0:1], v7, off
	v_lshlrev_b64 v[0:1], 2, v[2:3]
	v_mov_b32_e32 v2, v5
	v_mad_u64_u32 v[2:3], s[4:5], s3, v8, v[2:3]
	v_add_co_u32_e32 v0, vcc, v22, v0
	v_addc_co_u32_e32 v1, vcc, v39, v1, vcc
	v_pack_b32_f16 v3, v29, v16
	v_mov_b32_e32 v5, v2
	global_store_dword v[0:1], v3, off
	v_lshlrev_b64 v[0:1], 2, v[4:5]
	v_add_u32_e32 v4, 0x97e, v6
	v_mad_u64_u32 v[2:3], s[4:5], s2, v4, 0
	v_add_u32_e32 v5, 0x3cc, v9
	v_mul_hi_u32 v7, v5, s0
	v_mad_u64_u32 v[3:4], s[0:1], s3, v4, v[3:4]
	v_add_co_u32_e32 v0, vcc, v22, v0
	v_lshrrev_b32_e32 v4, 7, v7
	v_mul_u32_u24_e32 v7, 0x4bf, v4
	v_sub_u32_e32 v5, v5, v7
	v_mad_u32_u24 v7, v4, s6, v5
	v_mad_u64_u32 v[4:5], s[0:1], s2, v7, 0
	v_addc_co_u32_e32 v1, vcc, v39, v1, vcc
	v_pack_b32_f16 v6, v11, v30
	global_store_dword v[0:1], v6, off
	v_lshlrev_b64 v[0:1], 2, v[2:3]
	v_mov_b32_e32 v2, v5
	v_mad_u64_u32 v[2:3], s[0:1], s3, v7, v[2:3]
	v_add_co_u32_e32 v0, vcc, v22, v0
	v_addc_co_u32_e32 v1, vcc, v39, v1, vcc
	v_pack_b32_f16 v3, v12, v31
	v_mov_b32_e32 v5, v2
	global_store_dword v[0:1], v3, off
	v_lshlrev_b64 v[0:1], 2, v[4:5]
	v_add_u32_e32 v4, 0x4bf, v7
	v_mad_u64_u32 v[2:3], s[0:1], s2, v4, 0
	v_add_u32_e32 v7, 0x97e, v7
	v_add_co_u32_e32 v0, vcc, v22, v0
	v_mad_u64_u32 v[3:4], s[0:1], s3, v4, v[3:4]
	v_mad_u64_u32 v[4:5], s[0:1], s2, v7, 0
	v_addc_co_u32_e32 v1, vcc, v39, v1, vcc
	v_pack_b32_f16 v6, v10, v34
	global_store_dword v[0:1], v6, off
	v_lshlrev_b64 v[0:1], 2, v[2:3]
	v_mov_b32_e32 v2, v5
	v_mad_u64_u32 v[2:3], s[0:1], s3, v7, v[2:3]
	v_add_co_u32_e32 v0, vcc, v22, v0
	v_addc_co_u32_e32 v1, vcc, v39, v1, vcc
	v_pack_b32_f16 v3, v13, v17
	v_mov_b32_e32 v5, v2
	global_store_dword v[0:1], v3, off
	v_lshlrev_b64 v[0:1], 2, v[4:5]
	v_pack_b32_f16 v2, v33, v37
	v_add_co_u32_e32 v0, vcc, v22, v0
	v_addc_co_u32_e32 v1, vcc, v39, v1, vcc
	global_store_dword v[0:1], v2, off
.LBB0_15:
	s_endpgm
	.section	.rodata,"a",@progbits
	.p2align	6, 0x0
	.amdhsa_kernel fft_rtc_fwd_len3645_factors_5_3_3_3_3_3_3_wgs_243_tpt_243_halfLds_half_op_CI_CI_sbrr_dirReg
		.amdhsa_group_segment_fixed_size 0
		.amdhsa_private_segment_fixed_size 0
		.amdhsa_kernarg_size 104
		.amdhsa_user_sgpr_count 6
		.amdhsa_user_sgpr_private_segment_buffer 1
		.amdhsa_user_sgpr_dispatch_ptr 0
		.amdhsa_user_sgpr_queue_ptr 0
		.amdhsa_user_sgpr_kernarg_segment_ptr 1
		.amdhsa_user_sgpr_dispatch_id 0
		.amdhsa_user_sgpr_flat_scratch_init 0
		.amdhsa_user_sgpr_private_segment_size 0
		.amdhsa_uses_dynamic_stack 0
		.amdhsa_system_sgpr_private_segment_wavefront_offset 0
		.amdhsa_system_sgpr_workgroup_id_x 1
		.amdhsa_system_sgpr_workgroup_id_y 0
		.amdhsa_system_sgpr_workgroup_id_z 0
		.amdhsa_system_sgpr_workgroup_info 0
		.amdhsa_system_vgpr_workitem_id 0
		.amdhsa_next_free_vgpr 63
		.amdhsa_next_free_sgpr 32
		.amdhsa_reserve_vcc 1
		.amdhsa_reserve_flat_scratch 0
		.amdhsa_float_round_mode_32 0
		.amdhsa_float_round_mode_16_64 0
		.amdhsa_float_denorm_mode_32 3
		.amdhsa_float_denorm_mode_16_64 3
		.amdhsa_dx10_clamp 1
		.amdhsa_ieee_mode 1
		.amdhsa_fp16_overflow 0
		.amdhsa_exception_fp_ieee_invalid_op 0
		.amdhsa_exception_fp_denorm_src 0
		.amdhsa_exception_fp_ieee_div_zero 0
		.amdhsa_exception_fp_ieee_overflow 0
		.amdhsa_exception_fp_ieee_underflow 0
		.amdhsa_exception_fp_ieee_inexact 0
		.amdhsa_exception_int_div_zero 0
	.end_amdhsa_kernel
	.text
.Lfunc_end0:
	.size	fft_rtc_fwd_len3645_factors_5_3_3_3_3_3_3_wgs_243_tpt_243_halfLds_half_op_CI_CI_sbrr_dirReg, .Lfunc_end0-fft_rtc_fwd_len3645_factors_5_3_3_3_3_3_3_wgs_243_tpt_243_halfLds_half_op_CI_CI_sbrr_dirReg
                                        ; -- End function
	.section	.AMDGPU.csdata,"",@progbits
; Kernel info:
; codeLenInByte = 13860
; NumSgprs: 36
; NumVgprs: 63
; ScratchSize: 0
; MemoryBound: 0
; FloatMode: 240
; IeeeMode: 1
; LDSByteSize: 0 bytes/workgroup (compile time only)
; SGPRBlocks: 4
; VGPRBlocks: 15
; NumSGPRsForWavesPerEU: 36
; NumVGPRsForWavesPerEU: 63
; Occupancy: 4
; WaveLimiterHint : 1
; COMPUTE_PGM_RSRC2:SCRATCH_EN: 0
; COMPUTE_PGM_RSRC2:USER_SGPR: 6
; COMPUTE_PGM_RSRC2:TRAP_HANDLER: 0
; COMPUTE_PGM_RSRC2:TGID_X_EN: 1
; COMPUTE_PGM_RSRC2:TGID_Y_EN: 0
; COMPUTE_PGM_RSRC2:TGID_Z_EN: 0
; COMPUTE_PGM_RSRC2:TIDIG_COMP_CNT: 0
	.type	__hip_cuid_5513c32342226ace,@object ; @__hip_cuid_5513c32342226ace
	.section	.bss,"aw",@nobits
	.globl	__hip_cuid_5513c32342226ace
__hip_cuid_5513c32342226ace:
	.byte	0                               ; 0x0
	.size	__hip_cuid_5513c32342226ace, 1

	.ident	"AMD clang version 19.0.0git (https://github.com/RadeonOpenCompute/llvm-project roc-6.4.0 25133 c7fe45cf4b819c5991fe208aaa96edf142730f1d)"
	.section	".note.GNU-stack","",@progbits
	.addrsig
	.addrsig_sym __hip_cuid_5513c32342226ace
	.amdgpu_metadata
---
amdhsa.kernels:
  - .args:
      - .actual_access:  read_only
        .address_space:  global
        .offset:         0
        .size:           8
        .value_kind:     global_buffer
      - .offset:         8
        .size:           8
        .value_kind:     by_value
      - .actual_access:  read_only
        .address_space:  global
        .offset:         16
        .size:           8
        .value_kind:     global_buffer
      - .actual_access:  read_only
        .address_space:  global
        .offset:         24
        .size:           8
        .value_kind:     global_buffer
      - .actual_access:  read_only
        .address_space:  global
        .offset:         32
        .size:           8
        .value_kind:     global_buffer
      - .offset:         40
        .size:           8
        .value_kind:     by_value
      - .actual_access:  read_only
        .address_space:  global
        .offset:         48
        .size:           8
        .value_kind:     global_buffer
      - .actual_access:  read_only
        .address_space:  global
        .offset:         56
        .size:           8
        .value_kind:     global_buffer
      - .offset:         64
        .size:           4
        .value_kind:     by_value
      - .actual_access:  read_only
        .address_space:  global
        .offset:         72
        .size:           8
        .value_kind:     global_buffer
      - .actual_access:  read_only
        .address_space:  global
        .offset:         80
        .size:           8
        .value_kind:     global_buffer
      - .actual_access:  read_only
        .address_space:  global
        .offset:         88
        .size:           8
        .value_kind:     global_buffer
      - .actual_access:  write_only
        .address_space:  global
        .offset:         96
        .size:           8
        .value_kind:     global_buffer
    .group_segment_fixed_size: 0
    .kernarg_segment_align: 8
    .kernarg_segment_size: 104
    .language:       OpenCL C
    .language_version:
      - 2
      - 0
    .max_flat_workgroup_size: 243
    .name:           fft_rtc_fwd_len3645_factors_5_3_3_3_3_3_3_wgs_243_tpt_243_halfLds_half_op_CI_CI_sbrr_dirReg
    .private_segment_fixed_size: 0
    .sgpr_count:     36
    .sgpr_spill_count: 0
    .symbol:         fft_rtc_fwd_len3645_factors_5_3_3_3_3_3_3_wgs_243_tpt_243_halfLds_half_op_CI_CI_sbrr_dirReg.kd
    .uniform_work_group_size: 1
    .uses_dynamic_stack: false
    .vgpr_count:     63
    .vgpr_spill_count: 0
    .wavefront_size: 64
amdhsa.target:   amdgcn-amd-amdhsa--gfx906
amdhsa.version:
  - 1
  - 2
...

	.end_amdgpu_metadata
